;; amdgpu-corpus repo=tuanlda78202/gpt-oss-amd kind=compiled arch=gfx90a opt=O3
	.text
	.amdgcn_target "amdgcn-amd-amdhsa--gfx90a"
	.amdhsa_code_object_version 6
	.protected	_Z19embed_kernel_scalarPK14__hip_bfloat16PKiPfii ; -- Begin function _Z19embed_kernel_scalarPK14__hip_bfloat16PKiPfii
	.globl	_Z19embed_kernel_scalarPK14__hip_bfloat16PKiPfii
	.p2align	8
	.type	_Z19embed_kernel_scalarPK14__hip_bfloat16PKiPfii,@function
_Z19embed_kernel_scalarPK14__hip_bfloat16PKiPfii: ; @_Z19embed_kernel_scalarPK14__hip_bfloat16PKiPfii
; %bb.0:
	s_load_dword s1, s[4:5], 0x2c
	s_load_dwordx2 s[2:3], s[4:5], 0x18
	s_mov_b32 s0, s7
	s_waitcnt lgkmcnt(0)
	s_and_b32 s1, s1, 0xffff
	s_mul_i32 s6, s6, s1
	v_add_u32_e32 v1, s6, v0
	s_cmp_lt_i32 s7, s2
	s_cselect_b64 s[6:7], -1, 0
	v_cmp_gt_i32_e32 vcc, s3, v1
	s_and_b64 s[6:7], s[6:7], vcc
	s_and_saveexec_b64 s[8:9], s[6:7]
	s_cbranch_execz .LBB0_4
; %bb.1:
	s_load_dwordx2 s[8:9], s[4:5], 0x0
	s_load_dwordx2 s[6:7], s[4:5], 0x10
	v_cmp_eq_u32_e32 vcc, 0, v0
	s_and_saveexec_b64 s[10:11], vcc
	s_cbranch_execz .LBB0_3
; %bb.2:
	s_load_dwordx2 s[4:5], s[4:5], 0x8
	s_ashr_i32 s1, s0, 31
	s_lshl_b64 s[12:13], s[0:1], 2
	v_mov_b32_e32 v0, 0
	s_waitcnt lgkmcnt(0)
	s_add_u32 s4, s4, s12
	s_addc_u32 s5, s5, s13
	s_load_dword s1, s[4:5], 0x0
	s_waitcnt lgkmcnt(0)
	v_mov_b32_e32 v2, s1
	ds_write_b32 v0, v2
.LBB0_3:
	s_or_b64 exec, exec, s[10:11]
	v_mov_b32_e32 v0, 0
	s_waitcnt lgkmcnt(0)
	s_barrier
	ds_read_b32 v0, v0
	v_mov_b32_e32 v4, s9
	s_mul_i32 s0, s0, s3
	s_waitcnt lgkmcnt(0)
	v_mul_lo_u32 v0, v0, s3
	v_add_u32_e32 v2, v0, v1
	v_ashrrev_i32_e32 v3, 31, v2
	v_lshlrev_b64 v[2:3], 1, v[2:3]
	v_add_co_u32_e32 v2, vcc, s8, v2
	v_addc_co_u32_e32 v3, vcc, v4, v3, vcc
	global_load_ushort v2, v[2:3], off
	v_add_u32_e32 v0, s0, v1
	v_ashrrev_i32_e32 v1, 31, v0
	v_lshlrev_b64 v[0:1], 2, v[0:1]
	v_mov_b32_e32 v3, s7
	v_add_co_u32_e32 v0, vcc, s6, v0
	v_addc_co_u32_e32 v1, vcc, v3, v1, vcc
	s_waitcnt vmcnt(0)
	v_lshlrev_b32_e32 v2, 16, v2
	global_store_dword v[0:1], v2, off
.LBB0_4:
	s_endpgm
	.section	.rodata,"a",@progbits
	.p2align	6, 0x0
	.amdhsa_kernel _Z19embed_kernel_scalarPK14__hip_bfloat16PKiPfii
		.amdhsa_group_segment_fixed_size 4
		.amdhsa_private_segment_fixed_size 0
		.amdhsa_kernarg_size 288
		.amdhsa_user_sgpr_count 6
		.amdhsa_user_sgpr_private_segment_buffer 1
		.amdhsa_user_sgpr_dispatch_ptr 0
		.amdhsa_user_sgpr_queue_ptr 0
		.amdhsa_user_sgpr_kernarg_segment_ptr 1
		.amdhsa_user_sgpr_dispatch_id 0
		.amdhsa_user_sgpr_flat_scratch_init 0
		.amdhsa_user_sgpr_kernarg_preload_length 0
		.amdhsa_user_sgpr_kernarg_preload_offset 0
		.amdhsa_user_sgpr_private_segment_size 0
		.amdhsa_uses_dynamic_stack 0
		.amdhsa_system_sgpr_private_segment_wavefront_offset 0
		.amdhsa_system_sgpr_workgroup_id_x 1
		.amdhsa_system_sgpr_workgroup_id_y 1
		.amdhsa_system_sgpr_workgroup_id_z 0
		.amdhsa_system_sgpr_workgroup_info 0
		.amdhsa_system_vgpr_workitem_id 0
		.amdhsa_next_free_vgpr 5
		.amdhsa_next_free_sgpr 14
		.amdhsa_accum_offset 8
		.amdhsa_reserve_vcc 1
		.amdhsa_reserve_flat_scratch 0
		.amdhsa_float_round_mode_32 0
		.amdhsa_float_round_mode_16_64 0
		.amdhsa_float_denorm_mode_32 3
		.amdhsa_float_denorm_mode_16_64 3
		.amdhsa_dx10_clamp 1
		.amdhsa_ieee_mode 1
		.amdhsa_fp16_overflow 0
		.amdhsa_tg_split 0
		.amdhsa_exception_fp_ieee_invalid_op 0
		.amdhsa_exception_fp_denorm_src 0
		.amdhsa_exception_fp_ieee_div_zero 0
		.amdhsa_exception_fp_ieee_overflow 0
		.amdhsa_exception_fp_ieee_underflow 0
		.amdhsa_exception_fp_ieee_inexact 0
		.amdhsa_exception_int_div_zero 0
	.end_amdhsa_kernel
	.text
.Lfunc_end0:
	.size	_Z19embed_kernel_scalarPK14__hip_bfloat16PKiPfii, .Lfunc_end0-_Z19embed_kernel_scalarPK14__hip_bfloat16PKiPfii
                                        ; -- End function
	.section	.AMDGPU.csdata,"",@progbits
; Kernel info:
; codeLenInByte = 272
; NumSgprs: 18
; NumVgprs: 5
; NumAgprs: 0
; TotalNumVgprs: 5
; ScratchSize: 0
; MemoryBound: 0
; FloatMode: 240
; IeeeMode: 1
; LDSByteSize: 4 bytes/workgroup (compile time only)
; SGPRBlocks: 2
; VGPRBlocks: 0
; NumSGPRsForWavesPerEU: 18
; NumVGPRsForWavesPerEU: 5
; AccumOffset: 8
; Occupancy: 8
; WaveLimiterHint : 0
; COMPUTE_PGM_RSRC2:SCRATCH_EN: 0
; COMPUTE_PGM_RSRC2:USER_SGPR: 6
; COMPUTE_PGM_RSRC2:TRAP_HANDLER: 0
; COMPUTE_PGM_RSRC2:TGID_X_EN: 1
; COMPUTE_PGM_RSRC2:TGID_Y_EN: 1
; COMPUTE_PGM_RSRC2:TGID_Z_EN: 0
; COMPUTE_PGM_RSRC2:TIDIG_COMP_CNT: 0
; COMPUTE_PGM_RSRC3_GFX90A:ACCUM_OFFSET: 1
; COMPUTE_PGM_RSRC3_GFX90A:TG_SPLIT: 0
	.text
	.protected	_Z25gemm_bf16_f32_mfma_logitsPK14__hip_bfloat16PKfPfiii ; -- Begin function _Z25gemm_bf16_f32_mfma_logitsPK14__hip_bfloat16PKfPfiii
	.globl	_Z25gemm_bf16_f32_mfma_logitsPK14__hip_bfloat16PKfPfiii
	.p2align	8
	.type	_Z25gemm_bf16_f32_mfma_logitsPK14__hip_bfloat16PKfPfiii,@function
_Z25gemm_bf16_f32_mfma_logitsPK14__hip_bfloat16PKfPfiii: ; @_Z25gemm_bf16_f32_mfma_logitsPK14__hip_bfloat16PKfPfiii
; %bb.0:
	s_load_dwordx4 s[12:15], s[4:5], 0x0
	s_load_dwordx2 s[16:17], s[4:5], 0x10
	s_load_dwordx4 s[8:11], s[4:5], 0x18
	v_lshrrev_b32_e32 v6, 4, v0
	s_waitcnt lgkmcnt(0)
	s_lshl_b32 s11, s6, 6
	v_lshlrev_b32_e32 v1, 2, v0
	v_and_b32_e32 v1, 60, v1
	v_or_b32_e32 v19, s11, v6
	v_cmp_gt_i32_e64 s[0:1], s9, v19
	v_cmp_gt_i32_e32 vcc, s10, v1
	v_mov_b32_e32 v3, 0
	s_and_b64 s[4:5], s[0:1], vcc
	v_ashrrev_i32_e32 v20, 31, v19
	v_lshlrev_b32_e32 v18, 2, v1
	v_mov_b32_e32 v2, v3
	s_and_saveexec_b64 s[2:3], s[4:5]
	s_cbranch_execz .LBB1_18
; %bb.1:
	v_mad_u64_u32 v[2:3], s[4:5], s10, v19, 0
	v_mov_b32_e32 v4, v3
	v_mad_u64_u32 v[4:5], s[4:5], s10, v20, v[4:5]
	v_mov_b32_e32 v3, v4
	v_lshlrev_b64 v[2:3], 2, v[2:3]
	v_mov_b32_e32 v4, s15
	v_add_co_u32_e32 v2, vcc, s14, v2
	v_addc_co_u32_e32 v3, vcc, v4, v3, vcc
	v_add_co_u32_e32 v2, vcc, v2, v18
	v_addc_co_u32_e32 v3, vcc, 0, v3, vcc
	global_load_dwordx4 v[2:5], v[2:3], off
	s_mov_b32 s4, 0x7f800000
	s_waitcnt vmcnt(0)
	v_and_b32_e32 v7, 0x7f800000, v2
	v_cmp_ne_u32_e32 vcc, s4, v7
                                        ; implicit-def: $vgpr7
	s_and_saveexec_b64 s[4:5], vcc
	s_xor_b64 s[4:5], exec, s[4:5]
; %bb.2:
	v_bfe_u32 v7, v2, 16, 1
	s_movk_i32 s6, 0x7fff
	v_add3_u32 v7, v2, v7, s6
; %bb.3:
	s_andn2_saveexec_b64 s[4:5], s[4:5]
; %bb.4:
	v_mov_b32_e32 v7, 0
	v_or_b32_e32 v8, 0x10000, v2
	v_cmp_eq_u32_sdwa vcc, v2, v7 src0_sel:WORD_0 src1_sel:DWORD
	v_cndmask_b32_e32 v7, v8, v2, vcc
; %bb.5:
	s_or_b64 exec, exec, s[4:5]
	s_mov_b32 s4, 0x7f800000
	v_and_b32_e32 v2, 0x7f800000, v3
	v_cmp_ne_u32_e32 vcc, s4, v2
                                        ; implicit-def: $vgpr8
	s_and_saveexec_b64 s[4:5], vcc
	s_xor_b64 s[4:5], exec, s[4:5]
; %bb.6:
	v_bfe_u32 v2, v3, 16, 1
	s_movk_i32 s6, 0x7fff
	v_add3_u32 v8, v3, v2, s6
; %bb.7:
	s_andn2_saveexec_b64 s[4:5], s[4:5]
; %bb.8:
	v_mov_b32_e32 v2, 0
	v_or_b32_e32 v8, 0x10000, v3
	v_cmp_eq_u32_sdwa vcc, v3, v2 src0_sel:WORD_0 src1_sel:DWORD
	v_cndmask_b32_e32 v8, v8, v3, vcc
; %bb.9:
	s_or_b64 exec, exec, s[4:5]
	s_mov_b32 s4, 0x7f800000
	v_and_b32_e32 v2, 0x7f800000, v4
	v_cmp_ne_u32_e32 vcc, s4, v2
                                        ; implicit-def: $vgpr9
	s_and_saveexec_b64 s[4:5], vcc
	s_xor_b64 s[4:5], exec, s[4:5]
; %bb.10:
	v_bfe_u32 v2, v4, 16, 1
	s_movk_i32 s6, 0x7fff
	v_add3_u32 v9, v4, v2, s6
; %bb.11:
	s_andn2_saveexec_b64 s[4:5], s[4:5]
; %bb.12:
	v_mov_b32_e32 v2, 0
	v_or_b32_e32 v3, 0x10000, v4
	v_cmp_eq_u32_sdwa vcc, v4, v2 src0_sel:WORD_0 src1_sel:DWORD
	v_cndmask_b32_e32 v9, v3, v4, vcc
; %bb.13:
	s_or_b64 exec, exec, s[4:5]
	s_mov_b32 s4, 0x7f800000
	v_and_b32_e32 v2, 0x7f800000, v5
	v_cmp_ne_u32_e32 vcc, s4, v2
                                        ; implicit-def: $vgpr10
	s_and_saveexec_b64 s[4:5], vcc
	s_xor_b64 s[4:5], exec, s[4:5]
; %bb.14:
	v_bfe_u32 v2, v5, 16, 1
	s_movk_i32 s6, 0x7fff
	v_add3_u32 v10, v5, v2, s6
                                        ; implicit-def: $vgpr2_vgpr3_vgpr4_vgpr5
; %bb.15:
	s_andn2_saveexec_b64 s[4:5], s[4:5]
; %bb.16:
	v_mov_b32_e32 v2, 0
	v_or_b32_e32 v3, 0x10000, v5
	v_cmp_eq_u32_sdwa vcc, v5, v2 src0_sel:WORD_0 src1_sel:DWORD
	v_cndmask_b32_e32 v10, v3, v5, vcc
; %bb.17:
	s_or_b64 exec, exec, s[4:5]
	s_mov_b32 s4, 0x7060302
	v_perm_b32 v2, v8, v7, s4
	v_perm_b32 v3, v10, v9, s4
.LBB1_18:
	s_or_b64 exec, exec, s[2:3]
	s_movk_i32 s2, 0x44
	v_and_b32_e32 v5, 3, v6
	v_mad_u32_u24 v39, v6, s2, v1
	v_lshrrev_b32_e32 v4, 2, v0
	v_lshlrev_b32_e32 v6, 1, v39
	s_mov_b32 s4, 0
	s_cmp_gt_i32 s10, 0
	v_lshlrev_b32_e32 v38, 2, v5
	ds_write_b64 v6, v[2:3]
	s_waitcnt lgkmcnt(0)
	s_barrier
	s_cbranch_scc1 .LBB1_20
; %bb.19:
	v_lshlrev_b32_e32 v21, 2, v5
	s_mov_b64 s[2:3], 0
	s_branch .LBB1_21
.LBB1_20:
	s_mov_b64 s[2:3], -1
                                        ; implicit-def: $sgpr4
                                        ; implicit-def: $vgpr21
.LBB1_21:
	v_and_b32_e32 v36, 15, v0
	s_lshl_b32 s18, s7, 8
	v_and_b32_e32 v37, 0xf0, v4
	s_andn2_b64 vcc, exec, s[2:3]
	v_mov_b32_e32 v17, s4
	v_mov_b32_e32 v16, s4
	v_mov_b32_e32 v15, s4
	v_mov_b32_e32 v14, s4
	v_mov_b32_e32 v13, s4
	v_mov_b32_e32 v12, s4
	v_mov_b32_e32 v11, s4
	v_mov_b32_e32 v10, s4
	v_mov_b32_e32 v9, s4
	v_mov_b32_e32 v8, s4
	v_mov_b32_e32 v7, s4
	v_mov_b32_e32 v6, s4
	v_mov_b32_e32 v5, s4
	v_mov_b32_e32 v4, s4
	v_mov_b32_e32 v3, s4
	v_mov_b32_e32 v2, s4
	s_cbranch_vccnz .LBB1_93
; %bb.22:
	s_add_i32 s2, s10, 63
	s_ashr_i32 s3, s2, 31
	s_lshr_b32 s3, s3, 26
	s_add_i32 s2, s2, s3
	s_ashr_i32 s19, s2, 6
	v_mad_u64_u32 v[2:3], s[2:3], s10, v19, 0
	v_mov_b32_e32 v4, v3
	v_mad_u64_u32 v[4:5], s[2:3], s10, v20, v[4:5]
	v_mov_b32_e32 v3, v4
	v_lshlrev_b64 v[2:3], 2, v[2:3]
	v_mov_b32_e32 v4, s15
	v_add_co_u32_e32 v2, vcc, s14, v2
	v_addc_co_u32_e32 v3, vcc, v4, v3, vcc
	v_add_co_u32_e32 v2, vcc, v2, v18
	v_addc_co_u32_e32 v3, vcc, 0, v3, vcc
	s_movk_i32 s5, 0x100
	s_max_i32 s4, s19, 1
	v_add_co_u32_e32 v26, vcc, s5, v2
	v_or_b32_e32 v41, 64, v1
	v_add3_u32 v1, s18, v37, v36
	v_or3_b32 v4, v37, s18, v36
	v_addc_co_u32_e32 v27, vcc, 0, v3, vcc
	s_lshl_b32 s15, s4, 6
	v_mad_u64_u32 v[2:3], s[4:5], v1, s10, 0
	v_cmp_gt_i32_e64 s[2:3], s8, v4
	v_ashrrev_i32_e32 v5, 31, v1
	v_mov_b32_e32 v4, v3
	v_mad_u64_u32 v[4:5], s[4:5], v5, s10, v[4:5]
	v_mov_b32_e32 v3, v4
	v_lshrrev_b32_e32 v0, 1, v0
	v_lshlrev_b64 v[2:3], 1, v[2:3]
	v_and_b32_e32 v0, 24, v0
	v_add_co_u32_e32 v0, vcc, v2, v0
	v_addc_co_u32_e32 v1, vcc, 0, v3, vcc
	v_mov_b32_e32 v2, s13
	v_add_co_u32_e32 v0, vcc, s12, v0
	v_addc_co_u32_e32 v1, vcc, v1, v2, vcc
	s_movk_i32 s4, 0x64
	v_add_co_u32_e32 v28, vcc, s4, v0
	v_mov_b32_e32 v42, 0
	s_mov_b32 s14, 1
	v_mul_u32_u24_e32 v40, 0x88, v36
	v_addc_co_u32_e32 v29, vcc, 0, v1, vcc
	s_mov_b32 s20, 0
	s_mov_b32 s21, 0x7f800000
	s_movk_i32 s22, 0x7fff
	s_mov_b32 s23, 0xffff
	s_mov_b32 s24, 0x7060302
	;; [unrolled: 1-line block ×3, first 2 shown]
	v_mov_b32_e32 v14, 0
	v_mov_b32_e32 v15, v42
	;; [unrolled: 1-line block ×16, first 2 shown]
	s_branch .LBB1_25
.LBB1_23:                               ;   in Loop: Header=BB1_25 Depth=1
	s_or_b64 exec, exec, s[6:7]
.LBB1_24:                               ;   in Loop: Header=BB1_25 Depth=1
	s_or_b64 exec, exec, s[4:5]
	ds_read2_b64 v[16:19], v44 offset0:8 offset1:12
	v_add_co_u32_e32 v26, vcc, 0x100, v26
	v_addc_co_u32_e32 v27, vcc, 0, v27, vcc
	s_waitcnt vmcnt(0) lgkmcnt(0)
	v_mfma_f32_16x16x16bf16_1k v[12:15], v[34:35], v[16:17], v[12:15]
	v_add_u32_e32 v16, 0x880, v44
	ds_read2_b64 v[20:23], v16 offset0:8 offset1:12
	v_add_u32_e32 v16, 0x1100, v44
	ds_read2_b64 v[46:49], v16 offset0:8 offset1:12
	v_add_u32_e32 v16, 0x1980, v44
	s_add_i32 s20, s20, 64
	s_add_i32 s14, s14, 1
	s_waitcnt lgkmcnt(0)
	v_mfma_f32_16x16x16bf16_1k v[0:3], v[34:35], v[46:47], v[0:3]
	ds_read2_b64 v[44:47], v16 offset0:8 offset1:12
	v_add_co_u32_e32 v28, vcc, 0x80, v28
	v_addc_co_u32_e32 v29, vcc, 0, v29, vcc
	s_cmp_eq_u32 s15, s20
	s_waitcnt lgkmcnt(0)
	v_mfma_f32_16x16x16bf16_1k v[8:11], v[34:35], v[20:21], v[8:11]
	s_barrier
	v_mfma_f32_16x16x16bf16_1k v[50:53], v[34:35], v[44:45], v[4:7]
	v_mfma_f32_16x16x16bf16_1k v[14:17], v[32:33], v[18:19], v[12:15]
	;; [unrolled: 1-line block ×5, first 2 shown]
	s_cbranch_scc1 .LBB1_92
.LBB1_25:                               ; =>This Inner Loop Header: Depth=1
	s_add_i32 s4, s14, -1
	s_and_b32 s26, s4, 1
	s_cmp_ge_i32 s14, s19
	s_cbranch_scc1 .LBB1_45
; %bb.26:                               ;   in Loop: Header=BB1_25 Depth=1
	s_nop 0
	v_add_u32_e32 v0, s20, v41
	v_cmp_gt_i32_e32 vcc, s10, v0
	s_and_b64 s[6:7], s[0:1], vcc
	v_mov_b32_e32 v1, 0
	v_mov_b32_e32 v0, 0
	s_and_saveexec_b64 s[4:5], s[6:7]
	s_cbranch_execz .LBB1_44
; %bb.27:                               ;   in Loop: Header=BB1_25 Depth=1
	global_load_dwordx4 v[18:21], v[26:27], off
	s_waitcnt vmcnt(0)
	v_and_b32_e32 v0, 0x7f800000, v18
	v_cmp_ne_u32_e32 vcc, s21, v0
                                        ; implicit-def: $vgpr0
	s_and_saveexec_b64 s[6:7], vcc
	s_xor_b64 s[6:7], exec, s[6:7]
; %bb.28:                               ;   in Loop: Header=BB1_25 Depth=1
	v_bfe_u32 v0, v18, 16, 1
	v_add3_u32 v0, v18, v0, s22
; %bb.29:                               ;   in Loop: Header=BB1_25 Depth=1
	s_andn2_saveexec_b64 s[6:7], s[6:7]
; %bb.30:                               ;   in Loop: Header=BB1_25 Depth=1
	v_or_b32_e32 v0, 0x10000, v18
	v_cmp_eq_u32_sdwa vcc, v18, v42 src0_sel:WORD_0 src1_sel:DWORD
	v_cndmask_b32_e32 v0, v0, v18, vcc
; %bb.31:                               ;   in Loop: Header=BB1_25 Depth=1
	s_or_b64 exec, exec, s[6:7]
	v_and_b32_e32 v1, 0x7f800000, v19
	v_cmp_ne_u32_e32 vcc, s21, v1
                                        ; implicit-def: $vgpr1
	s_and_saveexec_b64 s[6:7], vcc
	s_xor_b64 s[6:7], exec, s[6:7]
; %bb.32:                               ;   in Loop: Header=BB1_25 Depth=1
	v_bfe_u32 v1, v19, 16, 1
	v_add3_u32 v1, v19, v1, s22
; %bb.33:                               ;   in Loop: Header=BB1_25 Depth=1
	s_andn2_saveexec_b64 s[6:7], s[6:7]
; %bb.34:                               ;   in Loop: Header=BB1_25 Depth=1
	v_or_b32_e32 v1, 0x10000, v19
	v_cmp_eq_u32_sdwa vcc, v19, v42 src0_sel:WORD_0 src1_sel:DWORD
	v_cndmask_b32_e32 v1, v1, v19, vcc
; %bb.35:                               ;   in Loop: Header=BB1_25 Depth=1
	s_or_b64 exec, exec, s[6:7]
	v_and_b32_e32 v18, 0x7f800000, v20
	v_cmp_ne_u32_e32 vcc, s21, v18
                                        ; implicit-def: $vgpr22
	s_and_saveexec_b64 s[6:7], vcc
	s_xor_b64 s[6:7], exec, s[6:7]
; %bb.36:                               ;   in Loop: Header=BB1_25 Depth=1
	v_bfe_u32 v18, v20, 16, 1
	v_add3_u32 v22, v20, v18, s22
; %bb.37:                               ;   in Loop: Header=BB1_25 Depth=1
	s_andn2_saveexec_b64 s[6:7], s[6:7]
; %bb.38:                               ;   in Loop: Header=BB1_25 Depth=1
	v_or_b32_e32 v18, 0x10000, v20
	v_cmp_eq_u32_sdwa vcc, v20, v42 src0_sel:WORD_0 src1_sel:DWORD
	v_cndmask_b32_e32 v22, v18, v20, vcc
; %bb.39:                               ;   in Loop: Header=BB1_25 Depth=1
	s_or_b64 exec, exec, s[6:7]
	v_and_b32_e32 v18, 0x7f800000, v21
	v_cmp_ne_u32_e32 vcc, s21, v18
                                        ; implicit-def: $vgpr23
	s_and_saveexec_b64 s[6:7], vcc
	s_xor_b64 s[6:7], exec, s[6:7]
; %bb.40:                               ;   in Loop: Header=BB1_25 Depth=1
	v_bfe_u32 v18, v21, 16, 1
	v_add3_u32 v23, v21, v18, s22
                                        ; implicit-def: $vgpr18_vgpr19_vgpr20_vgpr21
; %bb.41:                               ;   in Loop: Header=BB1_25 Depth=1
	s_andn2_saveexec_b64 s[6:7], s[6:7]
; %bb.42:                               ;   in Loop: Header=BB1_25 Depth=1
	v_or_b32_e32 v18, 0x10000, v21
	v_cmp_eq_u32_sdwa vcc, v21, v42 src0_sel:WORD_0 src1_sel:DWORD
	v_cndmask_b32_e32 v23, v18, v21, vcc
; %bb.43:                               ;   in Loop: Header=BB1_25 Depth=1
	s_or_b64 exec, exec, s[6:7]
	v_perm_b32 v0, v1, v0, s24
	v_perm_b32 v1, v23, v22, s24
.LBB1_44:                               ;   in Loop: Header=BB1_25 Depth=1
	s_or_b64 exec, exec, s[4:5]
	s_xor_b32 s4, s26, 1
	s_mulk_i32 s4, 0x2200
	v_lshl_add_u32 v18, v39, 1, s4
	ds_write_b64 v18, v[0:1]
.LBB1_45:                               ;   in Loop: Header=BB1_25 Depth=1
	v_mov_b32_e32 v30, 0
	v_add_u32_e32 v43, s20, v38
	v_mov_b32_e32 v0, 0
	v_mov_b32_e32 v1, 0
	s_and_saveexec_b64 s[4:5], s[2:3]
	s_cbranch_execz .LBB1_57
; %bb.46:                               ;   in Loop: Header=BB1_25 Depth=1
	v_add_u32_e32 v0, 3, v43
	v_cmp_le_i32_e32 vcc, s10, v0
                                        ; implicit-def: $vgpr1
	s_and_saveexec_b64 s[6:7], vcc
	s_xor_b64 s[6:7], exec, s[6:7]
	s_cbranch_execz .LBB1_54
; %bb.47:                               ;   in Loop: Header=BB1_25 Depth=1
	v_cmp_gt_i32_e32 vcc, s10, v43
	v_mov_b32_e32 v1, 0
	v_mov_b32_e32 v0, 0
	s_and_saveexec_b64 s[12:13], vcc
	s_cbranch_execz .LBB1_49
; %bb.48:                               ;   in Loop: Header=BB1_25 Depth=1
	global_load_ushort v0, v[28:29], off offset:-100
	s_waitcnt vmcnt(0)
	v_and_b32_e32 v0, 0xffff, v0
.LBB1_49:                               ;   in Loop: Header=BB1_25 Depth=1
	s_or_b64 exec, exec, s[12:13]
	v_add_u32_e32 v18, 1, v43
	v_cmp_gt_i32_e32 vcc, s10, v18
	s_and_saveexec_b64 s[12:13], vcc
	s_cbranch_execz .LBB1_51
; %bb.50:                               ;   in Loop: Header=BB1_25 Depth=1
	global_load_ushort v18, v[28:29], off offset:-98
	s_waitcnt vmcnt(0)
	v_perm_b32 v0, v18, v0, s25
.LBB1_51:                               ;   in Loop: Header=BB1_25 Depth=1
	s_or_b64 exec, exec, s[12:13]
	v_add_u32_e32 v18, 2, v43
	v_cmp_gt_i32_e32 vcc, s10, v18
	s_and_saveexec_b64 s[12:13], vcc
	s_cbranch_execz .LBB1_53
; %bb.52:                               ;   in Loop: Header=BB1_25 Depth=1
	global_load_ushort v18, v[28:29], off offset:-96
	s_waitcnt vmcnt(0)
	v_bfi_b32 v1, s23, v18, v1
.LBB1_53:                               ;   in Loop: Header=BB1_25 Depth=1
	s_or_b64 exec, exec, s[12:13]
.LBB1_54:                               ;   in Loop: Header=BB1_25 Depth=1
	s_andn2_saveexec_b64 s[6:7], s[6:7]
	s_cbranch_execz .LBB1_56
; %bb.55:                               ;   in Loop: Header=BB1_25 Depth=1
	global_load_dwordx2 v[0:1], v[28:29], off offset:-100
.LBB1_56:                               ;   in Loop: Header=BB1_25 Depth=1
	s_or_b64 exec, exec, s[6:7]
.LBB1_57:                               ;   in Loop: Header=BB1_25 Depth=1
	s_or_b64 exec, exec, s[4:5]
	v_mov_b32_e32 v31, 0
	s_and_saveexec_b64 s[4:5], s[2:3]
	s_cbranch_execz .LBB1_69
; %bb.58:                               ;   in Loop: Header=BB1_25 Depth=1
	v_add_u32_e32 v18, 19, v43
	v_cmp_le_i32_e32 vcc, s10, v18
                                        ; implicit-def: $vgpr31
	s_and_saveexec_b64 s[6:7], vcc
	s_xor_b64 s[6:7], exec, s[6:7]
	s_cbranch_execz .LBB1_66
; %bb.59:                               ;   in Loop: Header=BB1_25 Depth=1
	v_add_u32_e32 v18, 16, v43
	v_cmp_gt_i32_e32 vcc, s10, v18
	v_mov_b32_e32 v31, 0
	v_mov_b32_e32 v30, 0
	s_and_saveexec_b64 s[12:13], vcc
	s_cbranch_execz .LBB1_61
; %bb.60:                               ;   in Loop: Header=BB1_25 Depth=1
	global_load_ushort v18, v[28:29], off offset:-68
	s_waitcnt vmcnt(0)
	v_and_b32_e32 v30, 0xffff, v18
.LBB1_61:                               ;   in Loop: Header=BB1_25 Depth=1
	s_or_b64 exec, exec, s[12:13]
	v_add_u32_e32 v18, 17, v43
	v_cmp_gt_i32_e32 vcc, s10, v18
	s_and_saveexec_b64 s[12:13], vcc
	s_cbranch_execz .LBB1_63
; %bb.62:                               ;   in Loop: Header=BB1_25 Depth=1
	global_load_ushort v18, v[28:29], off offset:-66
	s_waitcnt vmcnt(0)
	v_perm_b32 v30, v18, v30, s25
.LBB1_63:                               ;   in Loop: Header=BB1_25 Depth=1
	s_or_b64 exec, exec, s[12:13]
	v_add_u32_e32 v18, 18, v43
	v_cmp_gt_i32_e32 vcc, s10, v18
	s_and_saveexec_b64 s[12:13], vcc
	s_cbranch_execz .LBB1_65
; %bb.64:                               ;   in Loop: Header=BB1_25 Depth=1
	global_load_ushort v18, v[28:29], off offset:-64
	s_waitcnt vmcnt(0)
	v_bfi_b32 v31, s23, v18, v31
.LBB1_65:                               ;   in Loop: Header=BB1_25 Depth=1
	s_or_b64 exec, exec, s[12:13]
.LBB1_66:                               ;   in Loop: Header=BB1_25 Depth=1
	s_andn2_saveexec_b64 s[6:7], s[6:7]
	s_cbranch_execz .LBB1_68
; %bb.67:                               ;   in Loop: Header=BB1_25 Depth=1
	global_load_dwordx2 v[30:31], v[28:29], off offset:-68
.LBB1_68:                               ;   in Loop: Header=BB1_25 Depth=1
	s_or_b64 exec, exec, s[6:7]
.LBB1_69:                               ;   in Loop: Header=BB1_25 Depth=1
	s_or_b64 exec, exec, s[4:5]
	s_mulk_i32 s26, 0x2200
	v_add_u32_e32 v18, s26, v40
	v_lshl_add_u32 v44, v38, 1, v18
	ds_read_b64 v[18:19], v44
	ds_read_b64 v[20:21], v44 offset:2176
	ds_read_b64 v[22:23], v44 offset:4352
	;; [unrolled: 1-line block ×3, first 2 shown]
	v_mov_b32_e32 v32, 0
	s_waitcnt vmcnt(0) lgkmcnt(3)
	v_mfma_f32_16x16x16bf16_1k v[14:17], v[0:1], v[18:19], v[14:17]
	v_mov_b32_e32 v34, 0
	v_mov_b32_e32 v35, 0
	s_waitcnt lgkmcnt(2)
	v_mfma_f32_16x16x16bf16_1k v[18:21], v[0:1], v[20:21], v[10:13]
	s_waitcnt lgkmcnt(1)
	v_mfma_f32_16x16x16bf16_1k v[22:25], v[0:1], v[22:23], v[6:9]
	;; [unrolled: 2-line block ×3, first 2 shown]
	s_and_saveexec_b64 s[4:5], s[2:3]
	s_cbranch_execz .LBB1_81
; %bb.70:                               ;   in Loop: Header=BB1_25 Depth=1
	v_add_u32_e32 v0, 35, v43
	v_cmp_le_i32_e32 vcc, s10, v0
                                        ; implicit-def: $vgpr35
	s_and_saveexec_b64 s[6:7], vcc
	s_xor_b64 s[6:7], exec, s[6:7]
	s_cbranch_execz .LBB1_78
; %bb.71:                               ;   in Loop: Header=BB1_25 Depth=1
	v_add_u32_e32 v0, 32, v43
	v_cmp_gt_i32_e32 vcc, s10, v0
	v_mov_b32_e32 v35, 0
	v_mov_b32_e32 v34, 0
	s_and_saveexec_b64 s[12:13], vcc
	s_cbranch_execz .LBB1_73
; %bb.72:                               ;   in Loop: Header=BB1_25 Depth=1
	global_load_ushort v0, v[28:29], off offset:-36
	s_waitcnt vmcnt(0)
	v_and_b32_e32 v34, 0xffff, v0
.LBB1_73:                               ;   in Loop: Header=BB1_25 Depth=1
	s_or_b64 exec, exec, s[12:13]
	v_add_u32_e32 v0, 33, v43
	v_cmp_gt_i32_e32 vcc, s10, v0
	s_and_saveexec_b64 s[12:13], vcc
	s_cbranch_execz .LBB1_75
; %bb.74:                               ;   in Loop: Header=BB1_25 Depth=1
	global_load_ushort v0, v[28:29], off offset:-34
	s_waitcnt vmcnt(0)
	v_perm_b32 v34, v0, v34, s25
.LBB1_75:                               ;   in Loop: Header=BB1_25 Depth=1
	s_or_b64 exec, exec, s[12:13]
	v_add_u32_e32 v0, 34, v43
	v_cmp_gt_i32_e32 vcc, s10, v0
	s_and_saveexec_b64 s[12:13], vcc
	s_cbranch_execz .LBB1_77
; %bb.76:                               ;   in Loop: Header=BB1_25 Depth=1
	global_load_ushort v0, v[28:29], off offset:-32
	s_waitcnt vmcnt(0)
	v_bfi_b32 v35, s23, v0, v35
.LBB1_77:                               ;   in Loop: Header=BB1_25 Depth=1
	s_or_b64 exec, exec, s[12:13]
.LBB1_78:                               ;   in Loop: Header=BB1_25 Depth=1
	s_andn2_saveexec_b64 s[6:7], s[6:7]
	s_cbranch_execz .LBB1_80
; %bb.79:                               ;   in Loop: Header=BB1_25 Depth=1
	global_load_dwordx2 v[34:35], v[28:29], off offset:-36
.LBB1_80:                               ;   in Loop: Header=BB1_25 Depth=1
	s_or_b64 exec, exec, s[6:7]
.LBB1_81:                               ;   in Loop: Header=BB1_25 Depth=1
	s_or_b64 exec, exec, s[4:5]
	ds_read_b64 v[0:1], v44 offset:32
	s_nop 2
	ds_read_b64 v[2:3], v44 offset:2208
	ds_read_b64 v[46:47], v44 offset:4384
	;; [unrolled: 1-line block ×3, first 2 shown]
	v_mov_b32_e32 v33, 0
	s_waitcnt lgkmcnt(3)
	v_mfma_f32_16x16x16bf16_1k v[12:15], v[30:31], v[0:1], v[14:17]
	s_waitcnt lgkmcnt(2)
	v_mfma_f32_16x16x16bf16_1k v[8:11], v[30:31], v[2:3], v[18:21]
	;; [unrolled: 2-line block ×4, first 2 shown]
	s_and_saveexec_b64 s[4:5], s[2:3]
	s_cbranch_execz .LBB1_24
; %bb.82:                               ;   in Loop: Header=BB1_25 Depth=1
	v_add_u32_e32 v16, 51, v43
	v_cmp_le_i32_e32 vcc, s10, v16
                                        ; implicit-def: $vgpr33
	s_and_saveexec_b64 s[6:7], vcc
	s_xor_b64 s[6:7], exec, s[6:7]
	s_cbranch_execz .LBB1_90
; %bb.83:                               ;   in Loop: Header=BB1_25 Depth=1
	v_add_u32_e32 v16, 48, v43
	v_cmp_gt_i32_e32 vcc, s10, v16
	v_mov_b32_e32 v33, 0
	v_mov_b32_e32 v32, 0
	s_and_saveexec_b64 s[12:13], vcc
	s_cbranch_execz .LBB1_85
; %bb.84:                               ;   in Loop: Header=BB1_25 Depth=1
	global_load_ushort v16, v[28:29], off offset:-4
	s_waitcnt vmcnt(0)
	v_and_b32_e32 v32, 0xffff, v16
.LBB1_85:                               ;   in Loop: Header=BB1_25 Depth=1
	s_or_b64 exec, exec, s[12:13]
	v_add_u32_e32 v16, 49, v43
	v_cmp_gt_i32_e32 vcc, s10, v16
	s_and_saveexec_b64 s[12:13], vcc
	s_cbranch_execz .LBB1_87
; %bb.86:                               ;   in Loop: Header=BB1_25 Depth=1
	global_load_ushort v16, v[28:29], off offset:-2
	s_waitcnt vmcnt(0)
	v_perm_b32 v32, v16, v32, s25
.LBB1_87:                               ;   in Loop: Header=BB1_25 Depth=1
	s_or_b64 exec, exec, s[12:13]
	v_add_u32_e32 v16, 50, v43
	v_cmp_gt_i32_e32 vcc, s10, v16
	s_and_saveexec_b64 s[12:13], vcc
	s_cbranch_execz .LBB1_89
; %bb.88:                               ;   in Loop: Header=BB1_25 Depth=1
	global_load_ushort v16, v[28:29], off
	s_waitcnt vmcnt(0)
	v_bfi_b32 v33, s23, v16, v33
.LBB1_89:                               ;   in Loop: Header=BB1_25 Depth=1
	s_or_b64 exec, exec, s[12:13]
.LBB1_90:                               ;   in Loop: Header=BB1_25 Depth=1
	s_andn2_saveexec_b64 s[6:7], s[6:7]
	s_cbranch_execz .LBB1_23
; %bb.91:                               ;   in Loop: Header=BB1_25 Depth=1
	global_load_dwordx2 v[32:33], v[28:29], off offset:-4
	s_branch .LBB1_23
.LBB1_92:
	v_mov_b32_e32 v21, v38
.LBB1_93:
	s_nop 3
	v_or3_b32 v0, v21, v37, s18
	v_or_b32_e32 v19, s11, v36
	v_or_b32_e32 v1, 3, v0
	;; [unrolled: 1-line block ×5, first 2 shown]
	v_cmp_le_i32_e64 s[0:1], s8, v1
	v_cmp_gt_i32_e32 vcc, s9, v19
	s_and_saveexec_b64 s[2:3], s[0:1]
	s_xor_b64 s[10:11], exec, s[2:3]
	s_cbranch_execz .LBB1_113
; %bb.94:
	v_mad_i64_i32 v[20:21], s[0:1], s8, v19, 0
	v_lshlrev_b64 v[20:21], 2, v[20:21]
	v_mov_b32_e32 v1, s17
	v_add_co_u32_e64 v20, s[0:1], s16, v20
	v_addc_co_u32_e64 v21, s[0:1], v1, v21, s[0:1]
	v_cmp_gt_i32_e64 s[4:5], s9, v18
	v_mad_i64_i32 v[18:19], s[0:1], s8, v18, 0
	v_lshlrev_b64 v[18:19], 2, v[18:19]
	v_add_co_u32_e64 v18, s[0:1], s16, v18
	v_addc_co_u32_e64 v19, s[0:1], v1, v19, s[0:1]
	v_mad_i64_i32 v[24:25], s[0:1], s8, v23, 0
	v_lshlrev_b64 v[24:25], 2, v[24:25]
	v_add_co_u32_e64 v13, s[0:1], s16, v24
	v_addc_co_u32_e64 v17, s[0:1], v1, v25, s[0:1]
	v_cmp_gt_i32_e64 s[2:3], s9, v23
	v_cmp_gt_i32_e64 s[0:1], s9, v22
	v_mad_i64_i32 v[22:23], s[6:7], s8, v22, 0
	v_lshlrev_b64 v[22:23], 2, v[22:23]
	v_add_co_u32_e64 v5, s[6:7], s16, v22
	v_addc_co_u32_e64 v9, s[6:7], v1, v23, s[6:7]
	v_cmp_gt_i32_e64 s[6:7], s8, v0
	s_and_saveexec_b64 s[12:13], s[6:7]
	s_cbranch_execz .LBB1_100
; %bb.95:
	s_and_saveexec_b64 s[14:15], vcc
	s_cbranch_execnz .LBB1_123
; %bb.96:
	s_or_b64 exec, exec, s[14:15]
	s_and_saveexec_b64 s[14:15], s[4:5]
	s_cbranch_execnz .LBB1_124
.LBB1_97:
	s_or_b64 exec, exec, s[14:15]
	s_and_saveexec_b64 s[14:15], s[2:3]
	s_cbranch_execnz .LBB1_125
.LBB1_98:
	s_or_b64 exec, exec, s[14:15]
	s_and_b64 exec, exec, s[0:1]
	s_cbranch_execz .LBB1_100
.LBB1_99:
	v_ashrrev_i32_e32 v1, 31, v0
	v_lshlrev_b64 v[22:23], 2, v[0:1]
	v_add_co_u32_e64 v22, s[6:7], v5, v22
	v_addc_co_u32_e64 v23, s[6:7], v9, v23, s[6:7]
	global_store_dword v[22:23], v2, off glc slc
.LBB1_100:
	s_or_b64 exec, exec, s[12:13]
	v_or_b32_e32 v1, 1, v0
	v_cmp_gt_i32_e64 s[6:7], s8, v1
	s_and_saveexec_b64 s[12:13], s[6:7]
	s_cbranch_execz .LBB1_106
; %bb.101:
	s_and_saveexec_b64 s[14:15], vcc
	s_cbranch_execnz .LBB1_126
; %bb.102:
	s_or_b64 exec, exec, s[14:15]
	s_and_saveexec_b64 s[14:15], s[4:5]
	s_cbranch_execnz .LBB1_127
.LBB1_103:
	s_or_b64 exec, exec, s[14:15]
	s_and_saveexec_b64 s[14:15], s[2:3]
	s_cbranch_execnz .LBB1_128
.LBB1_104:
	s_or_b64 exec, exec, s[14:15]
	s_and_b64 exec, exec, s[0:1]
	s_cbranch_execz .LBB1_106
.LBB1_105:
	v_ashrrev_i32_e32 v1, 31, v0
	v_lshlrev_b64 v[6:7], 2, v[0:1]
	v_add_co_u32_e64 v6, s[6:7], v5, v6
	v_addc_co_u32_e64 v7, s[6:7], v9, v7, s[6:7]
	global_store_dword v[6:7], v3, off offset:4 glc slc
.LBB1_106:
	s_or_b64 exec, exec, s[12:13]
	v_or_b32_e32 v1, 2, v0
	v_cmp_gt_i32_e64 s[6:7], s8, v1
	s_and_saveexec_b64 s[12:13], s[6:7]
	s_cbranch_execz .LBB1_112
; %bb.107:
	s_and_saveexec_b64 s[14:15], vcc
	s_cbranch_execnz .LBB1_129
; %bb.108:
	s_or_b64 exec, exec, s[14:15]
	s_and_saveexec_b64 s[6:7], s[4:5]
	s_cbranch_execnz .LBB1_130
.LBB1_109:
	s_or_b64 exec, exec, s[6:7]
	s_and_saveexec_b64 s[4:5], s[2:3]
	s_cbranch_execnz .LBB1_131
.LBB1_110:
	s_or_b64 exec, exec, s[4:5]
	s_and_b64 exec, exec, s[0:1]
	s_cbranch_execz .LBB1_112
.LBB1_111:
	v_ashrrev_i32_e32 v1, 31, v0
	v_lshlrev_b64 v[0:1], 2, v[0:1]
	v_add_co_u32_e64 v0, s[0:1], v5, v0
	v_addc_co_u32_e64 v1, s[0:1], v9, v1, s[0:1]
	global_store_dword v[0:1], v4, off offset:8 glc slc
.LBB1_112:
	s_or_b64 exec, exec, s[12:13]
                                        ; implicit-def: $vgpr0
                                        ; implicit-def: $vgpr19
                                        ; implicit-def: $vgpr18
                                        ; implicit-def: $vgpr23
                                        ; implicit-def: $vgpr22
                                        ; implicit-def: $vgpr17
                                        ; implicit-def: $vgpr13
                                        ; implicit-def: $vgpr9
                                        ; implicit-def: $vgpr5
.LBB1_113:
	s_andn2_saveexec_b64 s[0:1], s[10:11]
	s_cbranch_execz .LBB1_119
; %bb.114:
	v_ashrrev_i32_e32 v1, 31, v0
	s_and_saveexec_b64 s[0:1], vcc
	s_cbranch_execnz .LBB1_120
; %bb.115:
	s_or_b64 exec, exec, s[0:1]
	v_cmp_gt_i32_e32 vcc, s9, v18
	s_and_saveexec_b64 s[0:1], vcc
	s_cbranch_execnz .LBB1_121
.LBB1_116:
	s_or_b64 exec, exec, s[0:1]
	v_cmp_gt_i32_e32 vcc, s9, v23
	s_and_saveexec_b64 s[0:1], vcc
	s_cbranch_execnz .LBB1_122
.LBB1_117:
	s_or_b64 exec, exec, s[0:1]
	v_cmp_gt_i32_e32 vcc, s9, v22
	s_and_saveexec_b64 s[0:1], vcc
	s_cbranch_execz .LBB1_119
.LBB1_118:
	v_mad_i64_i32 v[6:7], s[0:1], s8, v22, 0
	v_lshlrev_b64 v[6:7], 2, v[6:7]
	v_mov_b32_e32 v8, s17
	v_add_co_u32_e32 v6, vcc, s16, v6
	v_addc_co_u32_e32 v7, vcc, v8, v7, vcc
	v_lshlrev_b64 v[0:1], 2, v[0:1]
	v_add_co_u32_e32 v0, vcc, v6, v0
	v_addc_co_u32_e32 v1, vcc, v7, v1, vcc
	global_store_dwordx4 v[0:1], v[2:5], off
.LBB1_119:
	s_endpgm
.LBB1_120:
	v_mad_i64_i32 v[20:21], s[2:3], s8, v19, 0
	v_lshlrev_b64 v[20:21], 2, v[20:21]
	v_mov_b32_e32 v19, s17
	v_add_co_u32_e32 v24, vcc, s16, v20
	v_addc_co_u32_e32 v19, vcc, v19, v21, vcc
	v_lshlrev_b64 v[20:21], 2, v[0:1]
	v_add_co_u32_e32 v20, vcc, v24, v20
	v_addc_co_u32_e32 v21, vcc, v19, v21, vcc
	global_store_dwordx4 v[20:21], v[14:17], off
	s_or_b64 exec, exec, s[0:1]
	v_cmp_gt_i32_e32 vcc, s9, v18
	s_and_saveexec_b64 s[0:1], vcc
	s_cbranch_execz .LBB1_116
.LBB1_121:
	v_mad_i64_i32 v[14:15], s[2:3], s8, v18, 0
	v_lshlrev_b64 v[14:15], 2, v[14:15]
	v_mov_b32_e32 v16, s17
	v_add_co_u32_e32 v17, vcc, s16, v14
	v_addc_co_u32_e32 v16, vcc, v16, v15, vcc
	v_lshlrev_b64 v[14:15], 2, v[0:1]
	v_add_co_u32_e32 v14, vcc, v17, v14
	v_addc_co_u32_e32 v15, vcc, v16, v15, vcc
	global_store_dwordx4 v[14:15], v[10:13], off
	s_or_b64 exec, exec, s[0:1]
	v_cmp_gt_i32_e32 vcc, s9, v23
	s_and_saveexec_b64 s[0:1], vcc
	s_cbranch_execz .LBB1_117
.LBB1_122:
	v_mad_i64_i32 v[10:11], s[2:3], s8, v23, 0
	v_lshlrev_b64 v[10:11], 2, v[10:11]
	v_mov_b32_e32 v12, s17
	v_add_co_u32_e32 v13, vcc, s16, v10
	v_addc_co_u32_e32 v12, vcc, v12, v11, vcc
	v_lshlrev_b64 v[10:11], 2, v[0:1]
	v_add_co_u32_e32 v10, vcc, v13, v10
	v_addc_co_u32_e32 v11, vcc, v12, v11, vcc
	global_store_dwordx4 v[10:11], v[6:9], off
	s_or_b64 exec, exec, s[0:1]
	v_cmp_gt_i32_e32 vcc, s9, v22
	s_and_saveexec_b64 s[0:1], vcc
	s_cbranch_execnz .LBB1_118
	s_branch .LBB1_119
.LBB1_123:
	v_ashrrev_i32_e32 v1, 31, v0
	v_lshlrev_b64 v[22:23], 2, v[0:1]
	v_add_co_u32_e64 v22, s[6:7], v20, v22
	v_addc_co_u32_e64 v23, s[6:7], v21, v23, s[6:7]
	global_store_dword v[22:23], v14, off glc slc
	s_or_b64 exec, exec, s[14:15]
	s_and_saveexec_b64 s[14:15], s[4:5]
	s_cbranch_execz .LBB1_97
.LBB1_124:
	v_ashrrev_i32_e32 v1, 31, v0
	v_lshlrev_b64 v[22:23], 2, v[0:1]
	v_add_co_u32_e64 v22, s[6:7], v18, v22
	v_addc_co_u32_e64 v23, s[6:7], v19, v23, s[6:7]
	global_store_dword v[22:23], v10, off glc slc
	s_or_b64 exec, exec, s[14:15]
	s_and_saveexec_b64 s[14:15], s[2:3]
	s_cbranch_execz .LBB1_98
.LBB1_125:
	v_ashrrev_i32_e32 v1, 31, v0
	v_lshlrev_b64 v[22:23], 2, v[0:1]
	v_add_co_u32_e64 v22, s[6:7], v13, v22
	v_addc_co_u32_e64 v23, s[6:7], v17, v23, s[6:7]
	global_store_dword v[22:23], v6, off glc slc
	s_or_b64 exec, exec, s[14:15]
	s_and_b64 exec, exec, s[0:1]
	s_cbranch_execnz .LBB1_99
	s_branch .LBB1_100
.LBB1_126:
	v_ashrrev_i32_e32 v1, 31, v0
	v_lshlrev_b64 v[22:23], 2, v[0:1]
	v_add_co_u32_e64 v22, s[6:7], v20, v22
	v_addc_co_u32_e64 v23, s[6:7], v21, v23, s[6:7]
	global_store_dword v[22:23], v15, off offset:4 glc slc
	s_or_b64 exec, exec, s[14:15]
	s_and_saveexec_b64 s[14:15], s[4:5]
	s_cbranch_execz .LBB1_103
.LBB1_127:
	v_ashrrev_i32_e32 v1, 31, v0
	v_lshlrev_b64 v[14:15], 2, v[0:1]
	v_add_co_u32_e64 v14, s[6:7], v18, v14
	v_addc_co_u32_e64 v15, s[6:7], v19, v15, s[6:7]
	global_store_dword v[14:15], v11, off offset:4 glc slc
	s_or_b64 exec, exec, s[14:15]
	s_and_saveexec_b64 s[14:15], s[2:3]
	s_cbranch_execz .LBB1_104
.LBB1_128:
	v_ashrrev_i32_e32 v1, 31, v0
	v_lshlrev_b64 v[10:11], 2, v[0:1]
	v_add_co_u32_e64 v10, s[6:7], v13, v10
	v_addc_co_u32_e64 v11, s[6:7], v17, v11, s[6:7]
	global_store_dword v[10:11], v7, off offset:4 glc slc
	s_or_b64 exec, exec, s[14:15]
	s_and_b64 exec, exec, s[0:1]
	s_cbranch_execnz .LBB1_105
	s_branch .LBB1_106
.LBB1_129:
	v_ashrrev_i32_e32 v1, 31, v0
	v_lshlrev_b64 v[2:3], 2, v[0:1]
	v_add_co_u32_e64 v2, s[6:7], v20, v2
	v_addc_co_u32_e64 v3, s[6:7], v21, v3, s[6:7]
	global_store_dword v[2:3], v16, off offset:8 glc slc
	s_or_b64 exec, exec, s[14:15]
	s_and_saveexec_b64 s[6:7], s[4:5]
	s_cbranch_execz .LBB1_109
.LBB1_130:
	v_ashrrev_i32_e32 v1, 31, v0
	v_lshlrev_b64 v[2:3], 2, v[0:1]
	v_add_co_u32_e64 v2, s[4:5], v18, v2
	v_addc_co_u32_e64 v3, s[4:5], v19, v3, s[4:5]
	global_store_dword v[2:3], v12, off offset:8 glc slc
	s_or_b64 exec, exec, s[6:7]
	s_and_saveexec_b64 s[4:5], s[2:3]
	s_cbranch_execz .LBB1_110
.LBB1_131:
	v_ashrrev_i32_e32 v1, 31, v0
	v_lshlrev_b64 v[2:3], 2, v[0:1]
	v_add_co_u32_e64 v2, s[2:3], v13, v2
	v_addc_co_u32_e64 v3, s[2:3], v17, v3, s[2:3]
	global_store_dword v[2:3], v8, off offset:8 glc slc
	s_or_b64 exec, exec, s[4:5]
	s_and_b64 exec, exec, s[0:1]
	s_cbranch_execnz .LBB1_111
	s_branch .LBB1_112
	.section	.rodata,"a",@progbits
	.p2align	6, 0x0
	.amdhsa_kernel _Z25gemm_bf16_f32_mfma_logitsPK14__hip_bfloat16PKfPfiii
		.amdhsa_group_segment_fixed_size 17408
		.amdhsa_private_segment_fixed_size 0
		.amdhsa_kernarg_size 36
		.amdhsa_user_sgpr_count 6
		.amdhsa_user_sgpr_private_segment_buffer 1
		.amdhsa_user_sgpr_dispatch_ptr 0
		.amdhsa_user_sgpr_queue_ptr 0
		.amdhsa_user_sgpr_kernarg_segment_ptr 1
		.amdhsa_user_sgpr_dispatch_id 0
		.amdhsa_user_sgpr_flat_scratch_init 0
		.amdhsa_user_sgpr_kernarg_preload_length 0
		.amdhsa_user_sgpr_kernarg_preload_offset 0
		.amdhsa_user_sgpr_private_segment_size 0
		.amdhsa_uses_dynamic_stack 0
		.amdhsa_system_sgpr_private_segment_wavefront_offset 0
		.amdhsa_system_sgpr_workgroup_id_x 1
		.amdhsa_system_sgpr_workgroup_id_y 1
		.amdhsa_system_sgpr_workgroup_id_z 0
		.amdhsa_system_sgpr_workgroup_info 0
		.amdhsa_system_vgpr_workitem_id 0
		.amdhsa_next_free_vgpr 54
		.amdhsa_next_free_sgpr 27
		.amdhsa_accum_offset 56
		.amdhsa_reserve_vcc 1
		.amdhsa_reserve_flat_scratch 0
		.amdhsa_float_round_mode_32 0
		.amdhsa_float_round_mode_16_64 0
		.amdhsa_float_denorm_mode_32 3
		.amdhsa_float_denorm_mode_16_64 3
		.amdhsa_dx10_clamp 1
		.amdhsa_ieee_mode 1
		.amdhsa_fp16_overflow 0
		.amdhsa_tg_split 0
		.amdhsa_exception_fp_ieee_invalid_op 0
		.amdhsa_exception_fp_denorm_src 0
		.amdhsa_exception_fp_ieee_div_zero 0
		.amdhsa_exception_fp_ieee_overflow 0
		.amdhsa_exception_fp_ieee_underflow 0
		.amdhsa_exception_fp_ieee_inexact 0
		.amdhsa_exception_int_div_zero 0
	.end_amdhsa_kernel
	.text
.Lfunc_end1:
	.size	_Z25gemm_bf16_f32_mfma_logitsPK14__hip_bfloat16PKfPfiii, .Lfunc_end1-_Z25gemm_bf16_f32_mfma_logitsPK14__hip_bfloat16PKfPfiii
                                        ; -- End function
	.section	.AMDGPU.csdata,"",@progbits
; Kernel info:
; codeLenInByte = 3752
; NumSgprs: 31
; NumVgprs: 54
; NumAgprs: 0
; TotalNumVgprs: 54
; ScratchSize: 0
; MemoryBound: 0
; FloatMode: 240
; IeeeMode: 1
; LDSByteSize: 17408 bytes/workgroup (compile time only)
; SGPRBlocks: 3
; VGPRBlocks: 6
; NumSGPRsForWavesPerEU: 31
; NumVGPRsForWavesPerEU: 54
; AccumOffset: 56
; Occupancy: 8
; WaveLimiterHint : 0
; COMPUTE_PGM_RSRC2:SCRATCH_EN: 0
; COMPUTE_PGM_RSRC2:USER_SGPR: 6
; COMPUTE_PGM_RSRC2:TRAP_HANDLER: 0
; COMPUTE_PGM_RSRC2:TGID_X_EN: 1
; COMPUTE_PGM_RSRC2:TGID_Y_EN: 1
; COMPUTE_PGM_RSRC2:TGID_Z_EN: 0
; COMPUTE_PGM_RSRC2:TIDIG_COMP_CNT: 0
; COMPUTE_PGM_RSRC3_GFX90A:ACCUM_OFFSET: 13
; COMPUTE_PGM_RSRC3_GFX90A:TG_SPLIT: 0
	.text
	.protected	_Z20gemm_bf16_f32_mfma_oPK14__hip_bfloat16PKfPfS1_iii ; -- Begin function _Z20gemm_bf16_f32_mfma_oPK14__hip_bfloat16PKfPfS1_iii
	.globl	_Z20gemm_bf16_f32_mfma_oPK14__hip_bfloat16PKfPfS1_iii
	.p2align	8
	.type	_Z20gemm_bf16_f32_mfma_oPK14__hip_bfloat16PKfPfS1_iii,@function
_Z20gemm_bf16_f32_mfma_oPK14__hip_bfloat16PKfPfS1_iii: ; @_Z20gemm_bf16_f32_mfma_oPK14__hip_bfloat16PKfPfS1_iii
; %bb.0:
	s_load_dwordx2 s[8:9], s[4:5], 0x18
	s_load_dwordx4 s[16:19], s[4:5], 0x20
	v_lshrrev_b32_e32 v2, 2, v0
	s_lshl_b32 s28, s7, 8
	v_and_b32_e32 v1, 0xf0, v2
	s_mov_b32 s0, 0
	v_or_b32_e32 v10, s28, v1
	v_and_b32_e32 v38, 12, v2
	s_mov_b32 s2, s0
	s_mov_b32 s3, s0
	v_or_b32_e32 v24, v10, v38
	s_mov_b32 s1, s0
	v_pk_mov_b32 v[4:5], s[2:3], s[2:3] op_sel:[0,1]
	s_waitcnt lgkmcnt(0)
	v_cmp_gt_i32_e64 s[12:13], s16, v24
	v_pk_mov_b32 v[2:3], s[0:1], s[0:1] op_sel:[0,1]
	s_and_saveexec_b64 s[0:1], s[12:13]
	s_cbranch_execz .LBB2_2
; %bb.1:
	v_ashrrev_i32_e32 v25, 31, v24
	v_lshlrev_b64 v[2:3], 1, v[24:25]
	v_mov_b32_e32 v4, s9
	v_add_co_u32_e32 v2, vcc, s8, v2
	v_addc_co_u32_e32 v3, vcc, v4, v3, vcc
	global_load_ushort v2, v[2:3], off
	v_mov_b32_e32 v3, 0
	v_mov_b32_e32 v4, v3
	;; [unrolled: 1-line block ×3, first 2 shown]
	s_waitcnt vmcnt(0)
	v_lshlrev_b32_e32 v2, 16, v2
.LBB2_2:
	s_or_b64 exec, exec, s[0:1]
	v_or_b32_e32 v6, 1, v24
	v_cmp_gt_i32_e64 s[2:3], s16, v6
	s_and_saveexec_b64 s[0:1], s[2:3]
	s_cbranch_execz .LBB2_4
; %bb.3:
	v_ashrrev_i32_e32 v25, 31, v24
	v_lshlrev_b64 v[6:7], 1, v[24:25]
	v_mov_b32_e32 v3, s9
	v_add_co_u32_e32 v6, vcc, s8, v6
	v_addc_co_u32_e32 v7, vcc, v3, v7, vcc
	global_load_ushort v3, v[6:7], off offset:2
	s_waitcnt vmcnt(0)
	v_lshlrev_b32_e32 v3, 16, v3
.LBB2_4:
	s_or_b64 exec, exec, s[0:1]
	v_or_b32_e32 v6, 2, v24
	v_cmp_gt_i32_e64 s[0:1], s16, v6
	s_and_saveexec_b64 s[10:11], s[0:1]
	s_cbranch_execz .LBB2_6
; %bb.5:
	v_ashrrev_i32_e32 v25, 31, v24
	v_lshlrev_b64 v[6:7], 1, v[24:25]
	v_mov_b32_e32 v4, s9
	v_add_co_u32_e32 v6, vcc, s8, v6
	v_addc_co_u32_e32 v7, vcc, v4, v7, vcc
	global_load_ushort v4, v[6:7], off offset:4
	s_waitcnt vmcnt(0)
	v_lshlrev_b32_e32 v4, 16, v4
.LBB2_6:
	s_or_b64 exec, exec, s[10:11]
	s_load_dwordx2 s[10:11], s[4:5], 0x8
	v_or_b32_e32 v6, 3, v24
	v_cmp_le_i32_e64 s[14:15], s16, v6
	v_cmp_gt_i32_e32 vcc, s16, v6
	s_and_saveexec_b64 s[20:21], vcc
	s_cbranch_execz .LBB2_8
; %bb.7:
	v_ashrrev_i32_e32 v25, 31, v24
	v_lshlrev_b64 v[6:7], 1, v[24:25]
	v_mov_b32_e32 v5, s9
	v_add_co_u32_e32 v6, vcc, s8, v6
	v_addc_co_u32_e32 v7, vcc, v5, v7, vcc
	global_load_ushort v5, v[6:7], off offset:6
	s_waitcnt vmcnt(0)
	v_lshlrev_b32_e32 v5, 16, v5
.LBB2_8:
	s_or_b64 exec, exec, s[20:21]
	s_load_dwordx2 s[22:23], s[4:5], 0x0
	s_load_dwordx2 s[20:21], s[4:5], 0x10
	s_lshl_b32 s19, s6, 6
	v_lshrrev_b32_e32 v15, 4, v0
	v_lshlrev_b32_e32 v6, 2, v0
	v_and_b32_e32 v11, 60, v6
	v_or_b32_e32 v13, s19, v15
	v_cmp_gt_i32_e64 s[8:9], s17, v13
	v_cmp_gt_i32_e32 vcc, s18, v11
	s_and_b64 s[4:5], s[8:9], vcc
	v_mov_b32_e32 v7, 0
	v_ashrrev_i32_e32 v14, 31, v13
	v_lshlrev_b32_e32 v12, 2, v11
	v_mov_b32_e32 v6, 0
	s_and_saveexec_b64 s[6:7], s[4:5]
	s_xor_b64 s[4:5], exec, s[6:7]
	s_cbranch_execz .LBB2_26
; %bb.9:
	v_mad_u64_u32 v[6:7], s[6:7], s18, v13, 0
	v_mov_b32_e32 v8, v7
	v_mad_u64_u32 v[8:9], s[6:7], s18, v14, v[8:9]
	v_mov_b32_e32 v7, v8
	v_lshlrev_b64 v[6:7], 2, v[6:7]
	s_waitcnt lgkmcnt(0)
	v_mov_b32_e32 v8, s11
	v_add_co_u32_e32 v6, vcc, s10, v6
	v_addc_co_u32_e32 v7, vcc, v8, v7, vcc
	v_add_co_u32_e32 v6, vcc, v6, v12
	v_addc_co_u32_e32 v7, vcc, 0, v7, vcc
	global_load_dwordx4 v[6:9], v[6:7], off
	s_mov_b32 s6, 0x7f800000
	s_waitcnt vmcnt(0)
	v_and_b32_e32 v16, 0x7f800000, v6
	v_cmp_ne_u32_e32 vcc, s6, v16
                                        ; implicit-def: $vgpr16
	s_and_saveexec_b64 s[6:7], vcc
	s_xor_b64 s[6:7], exec, s[6:7]
; %bb.10:
	v_bfe_u32 v16, v6, 16, 1
	s_movk_i32 s24, 0x7fff
	v_add3_u32 v16, v6, v16, s24
; %bb.11:
	s_andn2_saveexec_b64 s[6:7], s[6:7]
; %bb.12:
	v_mov_b32_e32 v16, 0
	v_or_b32_e32 v17, 0x10000, v6
	v_cmp_eq_u32_sdwa vcc, v6, v16 src0_sel:WORD_0 src1_sel:DWORD
	v_cndmask_b32_e32 v16, v17, v6, vcc
; %bb.13:
	s_or_b64 exec, exec, s[6:7]
	s_mov_b32 s6, 0x7f800000
	v_and_b32_e32 v6, 0x7f800000, v7
	v_cmp_ne_u32_e32 vcc, s6, v6
                                        ; implicit-def: $vgpr17
	s_and_saveexec_b64 s[6:7], vcc
	s_xor_b64 s[6:7], exec, s[6:7]
; %bb.14:
	v_bfe_u32 v6, v7, 16, 1
	s_movk_i32 s24, 0x7fff
	v_add3_u32 v17, v7, v6, s24
; %bb.15:
	s_andn2_saveexec_b64 s[6:7], s[6:7]
; %bb.16:
	v_mov_b32_e32 v6, 0
	v_or_b32_e32 v17, 0x10000, v7
	v_cmp_eq_u32_sdwa vcc, v7, v6 src0_sel:WORD_0 src1_sel:DWORD
	v_cndmask_b32_e32 v17, v17, v7, vcc
; %bb.17:
	s_or_b64 exec, exec, s[6:7]
	s_mov_b32 s6, 0x7f800000
	v_and_b32_e32 v6, 0x7f800000, v8
	v_cmp_ne_u32_e32 vcc, s6, v6
                                        ; implicit-def: $vgpr18
	s_and_saveexec_b64 s[6:7], vcc
	s_xor_b64 s[6:7], exec, s[6:7]
; %bb.18:
	v_bfe_u32 v6, v8, 16, 1
	s_movk_i32 s24, 0x7fff
	v_add3_u32 v18, v8, v6, s24
; %bb.19:
	s_andn2_saveexec_b64 s[6:7], s[6:7]
; %bb.20:
	v_mov_b32_e32 v6, 0
	v_or_b32_e32 v7, 0x10000, v8
	v_cmp_eq_u32_sdwa vcc, v8, v6 src0_sel:WORD_0 src1_sel:DWORD
	v_cndmask_b32_e32 v18, v7, v8, vcc
; %bb.21:
	s_or_b64 exec, exec, s[6:7]
	s_mov_b32 s6, 0x7f800000
	v_and_b32_e32 v6, 0x7f800000, v9
	v_cmp_ne_u32_e32 vcc, s6, v6
                                        ; implicit-def: $vgpr19
	s_and_saveexec_b64 s[6:7], vcc
	s_xor_b64 s[6:7], exec, s[6:7]
; %bb.22:
	v_bfe_u32 v6, v9, 16, 1
	s_movk_i32 s24, 0x7fff
	v_add3_u32 v19, v9, v6, s24
                                        ; implicit-def: $vgpr6_vgpr7_vgpr8_vgpr9
; %bb.23:
	s_andn2_saveexec_b64 s[6:7], s[6:7]
; %bb.24:
	v_mov_b32_e32 v6, 0
	v_or_b32_e32 v7, 0x10000, v9
	v_cmp_eq_u32_sdwa vcc, v9, v6 src0_sel:WORD_0 src1_sel:DWORD
	v_cndmask_b32_e32 v19, v7, v9, vcc
; %bb.25:
	s_or_b64 exec, exec, s[6:7]
	s_mov_b32 s6, 0x7060302
	v_perm_b32 v6, v17, v16, s6
	v_perm_b32 v7, v19, v18, s6
.LBB2_26:
	s_or_b64 exec, exec, s[4:5]
	s_movk_i32 s4, 0x44
	v_mad_u32_u24 v39, v15, s4, v11
	v_and_b32_e32 v25, 15, v0
	s_mov_b32 s24, 1
	v_lshlrev_b32_e32 v8, 1, v39
	s_cmp_lt_i32 s18, 1
	ds_write_b64 v8, v[6:7]
	s_waitcnt lgkmcnt(0)
	s_barrier
	s_cbranch_scc1 .LBB2_97
; %bb.27:
	s_add_i32 s4, s18, 63
	s_ashr_i32 s5, s4, 31
	s_lshr_b32 s5, s5, 26
	s_add_i32 s4, s4, s5
	s_ashr_i32 s25, s4, 6
	v_mad_u64_u32 v[6:7], s[4:5], s18, v13, 0
	v_mov_b32_e32 v8, v7
	v_mad_u64_u32 v[8:9], s[4:5], s18, v14, v[8:9]
	v_mov_b32_e32 v7, v8
	v_lshlrev_b64 v[6:7], 2, v[6:7]
	v_mov_b32_e32 v8, s11
	v_add_co_u32_e32 v6, vcc, s10, v6
	v_addc_co_u32_e32 v7, vcc, v8, v7, vcc
	v_add_co_u32_e32 v6, vcc, v6, v12
	v_addc_co_u32_e32 v7, vcc, 0, v7, vcc
	s_movk_i32 s5, 0x100
	s_max_i32 s4, s25, 1
	v_add_co_u32_e32 v26, vcc, s5, v6
	v_add3_u32 v1, s28, v1, v25
	v_or_b32_e32 v8, v10, v25
	v_addc_co_u32_e32 v27, vcc, 0, v7, vcc
	s_lshl_b32 s27, s4, 6
	v_mad_u64_u32 v[6:7], s[4:5], v1, s18, 0
	v_cmp_gt_i32_e64 s[10:11], s16, v8
	v_ashrrev_i32_e32 v9, 31, v1
	v_mov_b32_e32 v8, v7
	v_mad_u64_u32 v[8:9], s[4:5], v9, s18, v[8:9]
	v_mov_b32_e32 v7, v8
	v_lshrrev_b32_e32 v0, 1, v0
	v_lshlrev_b64 v[6:7], 1, v[6:7]
	v_and_b32_e32 v0, 24, v0
	v_add_co_u32_e32 v0, vcc, v6, v0
	v_addc_co_u32_e32 v1, vcc, 0, v7, vcc
	v_mov_b32_e32 v6, s23
	v_add_co_u32_e32 v0, vcc, s22, v0
	v_addc_co_u32_e32 v1, vcc, v1, v6, vcc
	s_movk_i32 s4, 0x64
	v_or_b32_e32 v41, 64, v11
	v_add_co_u32_e32 v28, vcc, s4, v0
	v_pk_mov_b32 v[16:17], v[4:5], v[4:5] op_sel:[0,1]
	v_pk_mov_b32 v[12:13], v[4:5], v[4:5] op_sel:[0,1]
	;; [unrolled: 1-line block ×3, first 2 shown]
	s_mov_b32 s26, 0
	v_mul_u32_u24_e32 v40, 0x88, v25
	v_addc_co_u32_e32 v29, vcc, 0, v1, vcc
	s_mov_b32 s28, 0x7f800000
	s_movk_i32 s29, 0x7fff
	s_mov_b32 s30, 0xffff
	s_mov_b32 s31, 0x7060302
	;; [unrolled: 1-line block ×3, first 2 shown]
	v_mov_b32_e32 v42, 0
	v_pk_mov_b32 v[14:15], v[2:3], v[2:3] op_sel:[0,1]
	v_pk_mov_b32 v[10:11], v[2:3], v[2:3] op_sel:[0,1]
	v_pk_mov_b32 v[6:7], v[2:3], v[2:3] op_sel:[0,1]
	s_branch .LBB2_30
.LBB2_28:                               ;   in Loop: Header=BB2_30 Depth=1
	s_or_b64 exec, exec, s[6:7]
.LBB2_29:                               ;   in Loop: Header=BB2_30 Depth=1
	s_or_b64 exec, exec, s[4:5]
	ds_read2_b64 v[16:19], v43 offset0:8 offset1:12
	v_add_co_u32_e32 v26, vcc, 0x100, v26
	v_addc_co_u32_e32 v27, vcc, 0, v27, vcc
	s_waitcnt vmcnt(0) lgkmcnt(0)
	v_mfma_f32_16x16x16bf16_1k v[12:15], v[34:35], v[16:17], v[12:15]
	v_add_u32_e32 v16, 0x880, v43
	ds_read2_b64 v[20:23], v16 offset0:8 offset1:12
	v_add_u32_e32 v16, 0x1100, v43
	ds_read2_b64 v[44:47], v16 offset0:8 offset1:12
	s_add_i32 s26, s26, 64
	s_add_i32 s24, s24, 1
	v_add_co_u32_e32 v28, vcc, 0x80, v28
	s_waitcnt lgkmcnt(0)
	v_mfma_f32_16x16x16bf16_1k v[48:51], v[34:35], v[44:45], v[0:3]
	v_addc_co_u32_e32 v29, vcc, 0, v29, vcc
	s_cmp_eq_u32 s27, s26
	s_nop 4
	v_add_u32_e32 v0, 0x1980, v43
	ds_read2_b64 v[52:55], v0 offset0:8 offset1:12
	v_mfma_f32_16x16x16bf16_1k v[8:11], v[34:35], v[20:21], v[8:11]
	s_waitcnt lgkmcnt(0)
	s_barrier
	v_mfma_f32_16x16x16bf16_1k v[34:37], v[34:35], v[52:53], v[4:7]
	v_mfma_f32_16x16x16bf16_1k v[2:5], v[32:33], v[18:19], v[12:15]
	;; [unrolled: 1-line block ×5, first 2 shown]
	s_cbranch_scc1 .LBB2_98
.LBB2_30:                               ; =>This Inner Loop Header: Depth=1
	s_add_i32 s4, s24, -1
	s_and_b32 s34, s4, 1
	s_cmp_ge_i32 s24, s25
	s_cbranch_scc1 .LBB2_50
; %bb.31:                               ;   in Loop: Header=BB2_30 Depth=1
	v_add_u32_e32 v0, s26, v41
	v_cmp_gt_i32_e32 vcc, s18, v0
	s_and_b64 s[6:7], s[8:9], vcc
	v_mov_b32_e32 v1, 0
	v_mov_b32_e32 v0, 0
	s_and_saveexec_b64 s[4:5], s[6:7]
	s_cbranch_execz .LBB2_49
; %bb.32:                               ;   in Loop: Header=BB2_30 Depth=1
	global_load_dwordx4 v[18:21], v[26:27], off
	s_waitcnt vmcnt(0)
	v_and_b32_e32 v0, 0x7f800000, v18
	v_cmp_ne_u32_e32 vcc, s28, v0
                                        ; implicit-def: $vgpr0
	s_and_saveexec_b64 s[6:7], vcc
	s_xor_b64 s[6:7], exec, s[6:7]
; %bb.33:                               ;   in Loop: Header=BB2_30 Depth=1
	v_bfe_u32 v0, v18, 16, 1
	v_add3_u32 v0, v18, v0, s29
; %bb.34:                               ;   in Loop: Header=BB2_30 Depth=1
	s_andn2_saveexec_b64 s[6:7], s[6:7]
; %bb.35:                               ;   in Loop: Header=BB2_30 Depth=1
	v_or_b32_e32 v0, 0x10000, v18
	v_cmp_eq_u32_sdwa vcc, v18, v42 src0_sel:WORD_0 src1_sel:DWORD
	v_cndmask_b32_e32 v0, v0, v18, vcc
; %bb.36:                               ;   in Loop: Header=BB2_30 Depth=1
	s_or_b64 exec, exec, s[6:7]
	v_and_b32_e32 v1, 0x7f800000, v19
	v_cmp_ne_u32_e32 vcc, s28, v1
                                        ; implicit-def: $vgpr1
	s_and_saveexec_b64 s[6:7], vcc
	s_xor_b64 s[6:7], exec, s[6:7]
; %bb.37:                               ;   in Loop: Header=BB2_30 Depth=1
	v_bfe_u32 v1, v19, 16, 1
	v_add3_u32 v1, v19, v1, s29
; %bb.38:                               ;   in Loop: Header=BB2_30 Depth=1
	s_andn2_saveexec_b64 s[6:7], s[6:7]
; %bb.39:                               ;   in Loop: Header=BB2_30 Depth=1
	v_or_b32_e32 v1, 0x10000, v19
	v_cmp_eq_u32_sdwa vcc, v19, v42 src0_sel:WORD_0 src1_sel:DWORD
	v_cndmask_b32_e32 v1, v1, v19, vcc
; %bb.40:                               ;   in Loop: Header=BB2_30 Depth=1
	s_or_b64 exec, exec, s[6:7]
	v_and_b32_e32 v18, 0x7f800000, v20
	v_cmp_ne_u32_e32 vcc, s28, v18
                                        ; implicit-def: $vgpr22
	s_and_saveexec_b64 s[6:7], vcc
	s_xor_b64 s[6:7], exec, s[6:7]
; %bb.41:                               ;   in Loop: Header=BB2_30 Depth=1
	v_bfe_u32 v18, v20, 16, 1
	v_add3_u32 v22, v20, v18, s29
; %bb.42:                               ;   in Loop: Header=BB2_30 Depth=1
	s_andn2_saveexec_b64 s[6:7], s[6:7]
; %bb.43:                               ;   in Loop: Header=BB2_30 Depth=1
	v_or_b32_e32 v18, 0x10000, v20
	v_cmp_eq_u32_sdwa vcc, v20, v42 src0_sel:WORD_0 src1_sel:DWORD
	v_cndmask_b32_e32 v22, v18, v20, vcc
; %bb.44:                               ;   in Loop: Header=BB2_30 Depth=1
	s_or_b64 exec, exec, s[6:7]
	v_and_b32_e32 v18, 0x7f800000, v21
	v_cmp_ne_u32_e32 vcc, s28, v18
                                        ; implicit-def: $vgpr23
	s_and_saveexec_b64 s[6:7], vcc
	s_xor_b64 s[6:7], exec, s[6:7]
; %bb.45:                               ;   in Loop: Header=BB2_30 Depth=1
	v_bfe_u32 v18, v21, 16, 1
	v_add3_u32 v23, v21, v18, s29
                                        ; implicit-def: $vgpr18_vgpr19_vgpr20_vgpr21
; %bb.46:                               ;   in Loop: Header=BB2_30 Depth=1
	s_andn2_saveexec_b64 s[6:7], s[6:7]
; %bb.47:                               ;   in Loop: Header=BB2_30 Depth=1
	v_or_b32_e32 v18, 0x10000, v21
	v_cmp_eq_u32_sdwa vcc, v21, v42 src0_sel:WORD_0 src1_sel:DWORD
	v_cndmask_b32_e32 v23, v18, v21, vcc
; %bb.48:                               ;   in Loop: Header=BB2_30 Depth=1
	s_or_b64 exec, exec, s[6:7]
	v_perm_b32 v0, v1, v0, s31
	v_perm_b32 v1, v23, v22, s31
.LBB2_49:                               ;   in Loop: Header=BB2_30 Depth=1
	s_or_b64 exec, exec, s[4:5]
	s_xor_b32 s4, s34, 1
	s_mulk_i32 s4, 0x2200
	v_lshl_add_u32 v18, v39, 1, s4
	ds_write_b64 v18, v[0:1]
.LBB2_50:                               ;   in Loop: Header=BB2_30 Depth=1
	v_mov_b32_e32 v30, 0
	s_nop 0
	v_mov_b32_e32 v36, 0
	v_mov_b32_e32 v37, 0
	s_and_saveexec_b64 s[4:5], s[10:11]
	s_cbranch_execz .LBB2_62
; %bb.51:                               ;   in Loop: Header=BB2_30 Depth=1
	v_add_u32_e32 v0, s26, v38
	v_add_u32_e32 v1, 3, v0
	v_cmp_le_i32_e32 vcc, s18, v1
                                        ; implicit-def: $vgpr37
	s_and_saveexec_b64 s[6:7], vcc
	s_xor_b64 s[6:7], exec, s[6:7]
	s_cbranch_execz .LBB2_59
; %bb.52:                               ;   in Loop: Header=BB2_30 Depth=1
	v_cmp_gt_i32_e32 vcc, s18, v0
	v_mov_b32_e32 v37, 0
	v_mov_b32_e32 v36, 0
	s_and_saveexec_b64 s[22:23], vcc
	s_cbranch_execz .LBB2_54
; %bb.53:                               ;   in Loop: Header=BB2_30 Depth=1
	global_load_ushort v1, v[28:29], off offset:-100
	s_waitcnt vmcnt(0)
	v_and_b32_e32 v36, 0xffff, v1
.LBB2_54:                               ;   in Loop: Header=BB2_30 Depth=1
	s_or_b64 exec, exec, s[22:23]
	v_add_u32_e32 v1, 1, v0
	v_cmp_gt_i32_e32 vcc, s18, v1
	s_and_saveexec_b64 s[22:23], vcc
	s_cbranch_execz .LBB2_56
; %bb.55:                               ;   in Loop: Header=BB2_30 Depth=1
	global_load_ushort v1, v[28:29], off offset:-98
	s_waitcnt vmcnt(0)
	v_perm_b32 v36, v1, v36, s33
.LBB2_56:                               ;   in Loop: Header=BB2_30 Depth=1
	s_or_b64 exec, exec, s[22:23]
	v_add_u32_e32 v0, 2, v0
	v_cmp_gt_i32_e32 vcc, s18, v0
	s_and_saveexec_b64 s[22:23], vcc
	s_cbranch_execz .LBB2_58
; %bb.57:                               ;   in Loop: Header=BB2_30 Depth=1
	global_load_ushort v0, v[28:29], off offset:-96
	s_waitcnt vmcnt(0)
	v_bfi_b32 v37, s30, v0, v37
.LBB2_58:                               ;   in Loop: Header=BB2_30 Depth=1
	s_or_b64 exec, exec, s[22:23]
.LBB2_59:                               ;   in Loop: Header=BB2_30 Depth=1
	s_andn2_saveexec_b64 s[6:7], s[6:7]
	s_cbranch_execz .LBB2_61
; %bb.60:                               ;   in Loop: Header=BB2_30 Depth=1
	global_load_dwordx2 v[36:37], v[28:29], off offset:-100
.LBB2_61:                               ;   in Loop: Header=BB2_30 Depth=1
	s_or_b64 exec, exec, s[6:7]
.LBB2_62:                               ;   in Loop: Header=BB2_30 Depth=1
	s_or_b64 exec, exec, s[4:5]
	v_mov_b32_e32 v31, 0
	s_and_saveexec_b64 s[4:5], s[10:11]
	s_cbranch_execz .LBB2_74
; %bb.63:                               ;   in Loop: Header=BB2_30 Depth=1
	v_add_u32_e32 v0, s26, v38
	v_add_u32_e32 v1, 19, v0
	v_cmp_le_i32_e32 vcc, s18, v1
                                        ; implicit-def: $vgpr31
	s_and_saveexec_b64 s[6:7], vcc
	s_xor_b64 s[6:7], exec, s[6:7]
	s_cbranch_execz .LBB2_71
; %bb.64:                               ;   in Loop: Header=BB2_30 Depth=1
	v_add_u32_e32 v1, 16, v0
	v_cmp_gt_i32_e32 vcc, s18, v1
	v_mov_b32_e32 v31, 0
	v_mov_b32_e32 v30, 0
	s_and_saveexec_b64 s[22:23], vcc
	s_cbranch_execz .LBB2_66
; %bb.65:                               ;   in Loop: Header=BB2_30 Depth=1
	global_load_ushort v1, v[28:29], off offset:-68
	s_waitcnt vmcnt(0)
	v_and_b32_e32 v30, 0xffff, v1
.LBB2_66:                               ;   in Loop: Header=BB2_30 Depth=1
	s_or_b64 exec, exec, s[22:23]
	v_add_u32_e32 v1, 17, v0
	v_cmp_gt_i32_e32 vcc, s18, v1
	s_and_saveexec_b64 s[22:23], vcc
	s_cbranch_execz .LBB2_68
; %bb.67:                               ;   in Loop: Header=BB2_30 Depth=1
	global_load_ushort v1, v[28:29], off offset:-66
	s_waitcnt vmcnt(0)
	v_perm_b32 v30, v1, v30, s33
.LBB2_68:                               ;   in Loop: Header=BB2_30 Depth=1
	s_or_b64 exec, exec, s[22:23]
	v_add_u32_e32 v0, 18, v0
	v_cmp_gt_i32_e32 vcc, s18, v0
	s_and_saveexec_b64 s[22:23], vcc
	s_cbranch_execz .LBB2_70
; %bb.69:                               ;   in Loop: Header=BB2_30 Depth=1
	global_load_ushort v0, v[28:29], off offset:-64
	s_waitcnt vmcnt(0)
	v_bfi_b32 v31, s30, v0, v31
.LBB2_70:                               ;   in Loop: Header=BB2_30 Depth=1
	s_or_b64 exec, exec, s[22:23]
.LBB2_71:                               ;   in Loop: Header=BB2_30 Depth=1
	s_andn2_saveexec_b64 s[6:7], s[6:7]
	s_cbranch_execz .LBB2_73
; %bb.72:                               ;   in Loop: Header=BB2_30 Depth=1
	global_load_dwordx2 v[30:31], v[28:29], off offset:-68
.LBB2_73:                               ;   in Loop: Header=BB2_30 Depth=1
	s_or_b64 exec, exec, s[6:7]
.LBB2_74:                               ;   in Loop: Header=BB2_30 Depth=1
	s_or_b64 exec, exec, s[4:5]
	s_mulk_i32 s34, 0x2200
	v_add_u32_e32 v0, s34, v40
	v_lshl_add_u32 v43, v38, 1, v0
	ds_read_b64 v[0:1], v43
	ds_read_b64 v[18:19], v43 offset:2176
	ds_read_b64 v[20:21], v43 offset:4352
	;; [unrolled: 1-line block ×3, first 2 shown]
	v_mov_b32_e32 v32, 0
	s_waitcnt vmcnt(0) lgkmcnt(3)
	v_mfma_f32_16x16x16bf16_1k v[0:3], v[36:37], v[0:1], v[2:5]
	v_mov_b32_e32 v34, 0
	v_mov_b32_e32 v35, 0
	s_waitcnt lgkmcnt(2)
	v_mfma_f32_16x16x16bf16_1k v[16:19], v[36:37], v[18:19], v[14:17]
	s_waitcnt lgkmcnt(1)
	v_mfma_f32_16x16x16bf16_1k v[20:23], v[36:37], v[20:21], v[10:13]
	;; [unrolled: 2-line block ×3, first 2 shown]
	s_and_saveexec_b64 s[4:5], s[10:11]
	s_cbranch_execz .LBB2_86
; %bb.75:                               ;   in Loop: Header=BB2_30 Depth=1
	s_nop 4
	v_add_u32_e32 v8, s26, v38
	v_add_u32_e32 v9, 35, v8
	v_cmp_le_i32_e32 vcc, s18, v9
                                        ; implicit-def: $vgpr35
	s_and_saveexec_b64 s[6:7], vcc
	s_xor_b64 s[6:7], exec, s[6:7]
	s_cbranch_execz .LBB2_83
; %bb.76:                               ;   in Loop: Header=BB2_30 Depth=1
	v_add_u32_e32 v9, 32, v8
	v_cmp_gt_i32_e32 vcc, s18, v9
	v_mov_b32_e32 v35, 0
	v_mov_b32_e32 v34, 0
	s_and_saveexec_b64 s[22:23], vcc
	s_cbranch_execz .LBB2_78
; %bb.77:                               ;   in Loop: Header=BB2_30 Depth=1
	global_load_ushort v9, v[28:29], off offset:-36
	s_waitcnt vmcnt(0)
	v_and_b32_e32 v34, 0xffff, v9
.LBB2_78:                               ;   in Loop: Header=BB2_30 Depth=1
	s_or_b64 exec, exec, s[22:23]
	v_add_u32_e32 v9, 33, v8
	v_cmp_gt_i32_e32 vcc, s18, v9
	s_and_saveexec_b64 s[22:23], vcc
	s_cbranch_execz .LBB2_80
; %bb.79:                               ;   in Loop: Header=BB2_30 Depth=1
	global_load_ushort v9, v[28:29], off offset:-34
	s_waitcnt vmcnt(0)
	v_perm_b32 v34, v9, v34, s33
.LBB2_80:                               ;   in Loop: Header=BB2_30 Depth=1
	s_or_b64 exec, exec, s[22:23]
	v_add_u32_e32 v8, 34, v8
	v_cmp_gt_i32_e32 vcc, s18, v8
	s_and_saveexec_b64 s[22:23], vcc
	s_cbranch_execz .LBB2_82
; %bb.81:                               ;   in Loop: Header=BB2_30 Depth=1
	global_load_ushort v8, v[28:29], off offset:-32
	s_waitcnt vmcnt(0)
	v_bfi_b32 v35, s30, v8, v35
.LBB2_82:                               ;   in Loop: Header=BB2_30 Depth=1
	s_or_b64 exec, exec, s[22:23]
.LBB2_83:                               ;   in Loop: Header=BB2_30 Depth=1
	s_andn2_saveexec_b64 s[6:7], s[6:7]
	s_cbranch_execz .LBB2_85
; %bb.84:                               ;   in Loop: Header=BB2_30 Depth=1
	global_load_dwordx2 v[34:35], v[28:29], off offset:-36
.LBB2_85:                               ;   in Loop: Header=BB2_30 Depth=1
	s_or_b64 exec, exec, s[6:7]
.LBB2_86:                               ;   in Loop: Header=BB2_30 Depth=1
	s_or_b64 exec, exec, s[4:5]
	s_nop 3
	ds_read_b64 v[8:9], v43 offset:32
	ds_read_b64 v[10:11], v43 offset:2208
	;; [unrolled: 1-line block ×4, first 2 shown]
	v_mov_b32_e32 v33, 0
	s_waitcnt lgkmcnt(3)
	v_mfma_f32_16x16x16bf16_1k v[12:15], v[30:31], v[8:9], v[0:3]
	s_waitcnt lgkmcnt(2)
	v_mfma_f32_16x16x16bf16_1k v[8:11], v[30:31], v[10:11], v[16:19]
	;; [unrolled: 2-line block ×4, first 2 shown]
	s_and_saveexec_b64 s[4:5], s[10:11]
	s_cbranch_execz .LBB2_29
; %bb.87:                               ;   in Loop: Header=BB2_30 Depth=1
	s_nop 0
	v_add_u32_e32 v16, s26, v38
	v_add_u32_e32 v17, 51, v16
	v_cmp_le_i32_e32 vcc, s18, v17
                                        ; implicit-def: $vgpr33
	s_and_saveexec_b64 s[6:7], vcc
	s_xor_b64 s[6:7], exec, s[6:7]
	s_cbranch_execz .LBB2_95
; %bb.88:                               ;   in Loop: Header=BB2_30 Depth=1
	v_add_u32_e32 v17, 48, v16
	v_cmp_gt_i32_e32 vcc, s18, v17
	v_mov_b32_e32 v33, 0
	v_mov_b32_e32 v32, 0
	s_and_saveexec_b64 s[22:23], vcc
	s_cbranch_execz .LBB2_90
; %bb.89:                               ;   in Loop: Header=BB2_30 Depth=1
	global_load_ushort v17, v[28:29], off offset:-4
	s_waitcnt vmcnt(0)
	v_and_b32_e32 v32, 0xffff, v17
.LBB2_90:                               ;   in Loop: Header=BB2_30 Depth=1
	s_or_b64 exec, exec, s[22:23]
	v_add_u32_e32 v17, 49, v16
	v_cmp_gt_i32_e32 vcc, s18, v17
	s_and_saveexec_b64 s[22:23], vcc
	s_cbranch_execz .LBB2_92
; %bb.91:                               ;   in Loop: Header=BB2_30 Depth=1
	global_load_ushort v17, v[28:29], off offset:-2
	s_waitcnt vmcnt(0)
	v_perm_b32 v32, v17, v32, s33
.LBB2_92:                               ;   in Loop: Header=BB2_30 Depth=1
	s_or_b64 exec, exec, s[22:23]
	v_add_u32_e32 v16, 50, v16
	v_cmp_gt_i32_e32 vcc, s18, v16
	s_and_saveexec_b64 s[22:23], vcc
	s_cbranch_execz .LBB2_94
; %bb.93:                               ;   in Loop: Header=BB2_30 Depth=1
	global_load_ushort v16, v[28:29], off
	s_waitcnt vmcnt(0)
	v_bfi_b32 v33, s30, v16, v33
.LBB2_94:                               ;   in Loop: Header=BB2_30 Depth=1
	s_or_b64 exec, exec, s[22:23]
.LBB2_95:                               ;   in Loop: Header=BB2_30 Depth=1
	s_andn2_saveexec_b64 s[6:7], s[6:7]
	s_cbranch_execz .LBB2_28
; %bb.96:                               ;   in Loop: Header=BB2_30 Depth=1
	global_load_dwordx2 v[32:33], v[28:29], off offset:-4
	s_branch .LBB2_28
.LBB2_97:
	v_pk_mov_b32 v[16:17], v[4:5], v[4:5] op_sel:[0,1]
	v_pk_mov_b32 v[12:13], v[4:5], v[4:5] op_sel:[0,1]
	v_pk_mov_b32 v[8:9], v[4:5], v[4:5] op_sel:[0,1]
	v_pk_mov_b32 v[14:15], v[2:3], v[2:3] op_sel:[0,1]
	v_pk_mov_b32 v[10:11], v[2:3], v[2:3] op_sel:[0,1]
	v_pk_mov_b32 v[6:7], v[2:3], v[2:3] op_sel:[0,1]
.LBB2_98:
	v_or_b32_e32 v18, s19, v25
	v_or_b32_e32 v20, 16, v18
	;; [unrolled: 1-line block ×4, first 2 shown]
	v_cmp_gt_i32_e32 vcc, s17, v18
	s_and_saveexec_b64 s[4:5], s[14:15]
	s_xor_b64 s[14:15], exec, s[4:5]
	s_cbranch_execz .LBB2_118
; %bb.99:
	v_mad_i64_i32 v[18:19], s[4:5], s16, v18, 0
	v_lshlrev_b64 v[18:19], 2, v[18:19]
	v_mov_b32_e32 v22, s21
	v_add_co_u32_e64 v18, s[4:5], s20, v18
	v_addc_co_u32_e64 v19, s[4:5], v22, v19, s[4:5]
	v_cmp_gt_i32_e64 s[10:11], s17, v20
	v_mad_i64_i32 v[20:21], s[4:5], s16, v20, 0
	v_lshlrev_b64 v[20:21], 2, v[20:21]
	v_add_co_u32_e64 v13, s[4:5], s20, v20
	v_addc_co_u32_e64 v17, s[4:5], v22, v21, s[4:5]
	v_mad_i64_i32 v[20:21], s[4:5], s16, v1, 0
	v_lshlrev_b64 v[20:21], 2, v[20:21]
	v_add_co_u32_e64 v5, s[4:5], s20, v20
	v_cmp_gt_i32_e64 s[8:9], s17, v1
	v_addc_co_u32_e64 v9, s[4:5], v22, v21, s[4:5]
	v_cmp_gt_i32_e64 s[6:7], s17, v0
	v_mad_i64_i32 v[0:1], s[4:5], s16, v0, 0
	v_lshlrev_b64 v[0:1], 2, v[0:1]
	v_add_co_u32_e64 v0, s[4:5], s20, v0
	v_addc_co_u32_e64 v1, s[4:5], v22, v1, s[4:5]
	s_and_saveexec_b64 s[18:19], s[12:13]
	s_cbranch_execz .LBB2_105
; %bb.100:
	s_and_saveexec_b64 s[12:13], vcc
	s_cbranch_execnz .LBB2_128
; %bb.101:
	s_or_b64 exec, exec, s[12:13]
	s_and_saveexec_b64 s[12:13], s[10:11]
	s_cbranch_execnz .LBB2_129
.LBB2_102:
	s_or_b64 exec, exec, s[12:13]
	s_and_saveexec_b64 s[12:13], s[8:9]
	s_cbranch_execnz .LBB2_130
.LBB2_103:
	s_or_b64 exec, exec, s[12:13]
	s_and_b64 exec, exec, s[6:7]
	s_cbranch_execz .LBB2_105
.LBB2_104:
	v_ashrrev_i32_e32 v25, 31, v24
	v_lshlrev_b64 v[20:21], 2, v[24:25]
	v_add_co_u32_e64 v20, s[4:5], v0, v20
	v_addc_co_u32_e64 v21, s[4:5], v1, v21, s[4:5]
	global_store_dword v[20:21], v6, off glc slc
.LBB2_105:
	s_or_b64 exec, exec, s[18:19]
	s_and_saveexec_b64 s[4:5], s[2:3]
	s_cbranch_execz .LBB2_111
; %bb.106:
	s_and_saveexec_b64 s[12:13], vcc
	s_cbranch_execnz .LBB2_131
; %bb.107:
	s_or_b64 exec, exec, s[12:13]
	s_and_saveexec_b64 s[12:13], s[10:11]
	s_cbranch_execnz .LBB2_132
.LBB2_108:
	s_or_b64 exec, exec, s[12:13]
	s_and_saveexec_b64 s[12:13], s[8:9]
	s_cbranch_execnz .LBB2_133
.LBB2_109:
	s_or_b64 exec, exec, s[12:13]
	s_and_b64 exec, exec, s[6:7]
	s_cbranch_execz .LBB2_111
.LBB2_110:
	v_ashrrev_i32_e32 v25, 31, v24
	v_lshlrev_b64 v[2:3], 2, v[24:25]
	v_add_co_u32_e64 v2, s[2:3], v0, v2
	v_addc_co_u32_e64 v3, s[2:3], v1, v3, s[2:3]
	global_store_dword v[2:3], v7, off offset:4 glc slc
.LBB2_111:
	s_or_b64 exec, exec, s[4:5]
	s_and_saveexec_b64 s[2:3], s[0:1]
	s_cbranch_execz .LBB2_117
; %bb.112:
	s_and_saveexec_b64 s[4:5], vcc
	s_cbranch_execnz .LBB2_134
; %bb.113:
	s_or_b64 exec, exec, s[4:5]
	s_and_saveexec_b64 s[4:5], s[10:11]
	s_cbranch_execnz .LBB2_135
.LBB2_114:
	s_or_b64 exec, exec, s[4:5]
	s_and_saveexec_b64 s[4:5], s[8:9]
	s_cbranch_execnz .LBB2_136
.LBB2_115:
	s_or_b64 exec, exec, s[4:5]
	s_and_b64 exec, exec, s[6:7]
	s_cbranch_execz .LBB2_117
.LBB2_116:
	v_ashrrev_i32_e32 v25, 31, v24
	v_lshlrev_b64 v[2:3], 2, v[24:25]
	v_add_co_u32_e64 v0, s[0:1], v0, v2
	v_addc_co_u32_e64 v1, s[0:1], v1, v3, s[0:1]
	global_store_dword v[0:1], v8, off offset:8 glc slc
.LBB2_117:
	s_or_b64 exec, exec, s[2:3]
                                        ; implicit-def: $vgpr24
                                        ; implicit-def: $vgpr18
                                        ; implicit-def: $vgpr20
                                        ; implicit-def: $vgpr1
                                        ; implicit-def: $vgpr0
                                        ; implicit-def: $vgpr2_vgpr3_vgpr4_vgpr5
                                        ; implicit-def: $vgpr14_vgpr15_vgpr16_vgpr17
                                        ; implicit-def: $vgpr10_vgpr11_vgpr12_vgpr13
                                        ; implicit-def: $vgpr6_vgpr7_vgpr8_vgpr9
.LBB2_118:
	s_andn2_saveexec_b64 s[0:1], s[14:15]
	s_cbranch_execz .LBB2_124
; %bb.119:
	s_and_saveexec_b64 s[0:1], vcc
	s_cbranch_execnz .LBB2_125
; %bb.120:
	s_or_b64 exec, exec, s[0:1]
	v_cmp_gt_i32_e32 vcc, s17, v20
	s_and_saveexec_b64 s[0:1], vcc
	s_cbranch_execnz .LBB2_126
.LBB2_121:
	s_or_b64 exec, exec, s[0:1]
	v_cmp_gt_i32_e32 vcc, s17, v1
	s_and_saveexec_b64 s[0:1], vcc
	s_cbranch_execnz .LBB2_127
.LBB2_122:
	s_or_b64 exec, exec, s[0:1]
	v_cmp_gt_i32_e32 vcc, s17, v0
	s_and_saveexec_b64 s[0:1], vcc
	s_cbranch_execz .LBB2_124
.LBB2_123:
	v_mad_i64_i32 v[0:1], s[0:1], s16, v0, 0
	v_lshlrev_b64 v[0:1], 2, v[0:1]
	v_ashrrev_i32_e32 v25, 31, v24
	v_mov_b32_e32 v2, s21
	v_add_co_u32_e32 v3, vcc, s20, v0
	v_addc_co_u32_e32 v2, vcc, v2, v1, vcc
	v_lshlrev_b64 v[0:1], 2, v[24:25]
	v_add_co_u32_e32 v0, vcc, v3, v0
	v_addc_co_u32_e32 v1, vcc, v2, v1, vcc
	global_store_dwordx4 v[0:1], v[6:9], off
.LBB2_124:
	s_endpgm
.LBB2_125:
	v_mad_i64_i32 v[18:19], s[2:3], s16, v18, 0
	v_lshlrev_b64 v[18:19], 2, v[18:19]
	v_ashrrev_i32_e32 v25, 31, v24
	v_mov_b32_e32 v21, s21
	v_add_co_u32_e32 v22, vcc, s20, v18
	v_addc_co_u32_e32 v21, vcc, v21, v19, vcc
	v_lshlrev_b64 v[18:19], 2, v[24:25]
	v_add_co_u32_e32 v18, vcc, v22, v18
	v_addc_co_u32_e32 v19, vcc, v21, v19, vcc
	global_store_dwordx4 v[18:19], v[2:5], off
	s_or_b64 exec, exec, s[0:1]
	v_cmp_gt_i32_e32 vcc, s17, v20
	s_and_saveexec_b64 s[0:1], vcc
	s_cbranch_execz .LBB2_121
.LBB2_126:
	v_mad_i64_i32 v[2:3], s[2:3], s16, v20, 0
	v_lshlrev_b64 v[2:3], 2, v[2:3]
	v_ashrrev_i32_e32 v25, 31, v24
	v_mov_b32_e32 v4, s21
	v_add_co_u32_e32 v5, vcc, s20, v2
	v_addc_co_u32_e32 v4, vcc, v4, v3, vcc
	v_lshlrev_b64 v[2:3], 2, v[24:25]
	v_add_co_u32_e32 v2, vcc, v5, v2
	v_addc_co_u32_e32 v3, vcc, v4, v3, vcc
	global_store_dwordx4 v[2:3], v[14:17], off
	s_or_b64 exec, exec, s[0:1]
	v_cmp_gt_i32_e32 vcc, s17, v1
	s_and_saveexec_b64 s[0:1], vcc
	s_cbranch_execz .LBB2_122
.LBB2_127:
	v_mad_i64_i32 v[2:3], s[2:3], s16, v1, 0
	v_lshlrev_b64 v[2:3], 2, v[2:3]
	v_ashrrev_i32_e32 v25, 31, v24
	v_mov_b32_e32 v1, s21
	v_add_co_u32_e32 v4, vcc, s20, v2
	v_addc_co_u32_e32 v1, vcc, v1, v3, vcc
	v_lshlrev_b64 v[2:3], 2, v[24:25]
	v_add_co_u32_e32 v2, vcc, v4, v2
	v_addc_co_u32_e32 v3, vcc, v1, v3, vcc
	global_store_dwordx4 v[2:3], v[10:13], off
	s_or_b64 exec, exec, s[0:1]
	v_cmp_gt_i32_e32 vcc, s17, v0
	s_and_saveexec_b64 s[0:1], vcc
	s_cbranch_execnz .LBB2_123
	s_branch .LBB2_124
.LBB2_128:
	v_ashrrev_i32_e32 v25, 31, v24
	v_lshlrev_b64 v[20:21], 2, v[24:25]
	v_add_co_u32_e64 v20, s[4:5], v18, v20
	v_addc_co_u32_e64 v21, s[4:5], v19, v21, s[4:5]
	global_store_dword v[20:21], v2, off glc slc
	s_or_b64 exec, exec, s[12:13]
	s_and_saveexec_b64 s[12:13], s[10:11]
	s_cbranch_execz .LBB2_102
.LBB2_129:
	v_ashrrev_i32_e32 v25, 31, v24
	v_lshlrev_b64 v[20:21], 2, v[24:25]
	v_add_co_u32_e64 v20, s[4:5], v13, v20
	v_addc_co_u32_e64 v21, s[4:5], v17, v21, s[4:5]
	global_store_dword v[20:21], v14, off glc slc
	s_or_b64 exec, exec, s[12:13]
	s_and_saveexec_b64 s[12:13], s[8:9]
	s_cbranch_execz .LBB2_103
.LBB2_130:
	v_ashrrev_i32_e32 v25, 31, v24
	v_lshlrev_b64 v[20:21], 2, v[24:25]
	v_add_co_u32_e64 v20, s[4:5], v5, v20
	v_addc_co_u32_e64 v21, s[4:5], v9, v21, s[4:5]
	global_store_dword v[20:21], v10, off glc slc
	s_or_b64 exec, exec, s[12:13]
	s_and_b64 exec, exec, s[6:7]
	s_cbranch_execnz .LBB2_104
	s_branch .LBB2_105
.LBB2_131:
	v_ashrrev_i32_e32 v25, 31, v24
	v_lshlrev_b64 v[20:21], 2, v[24:25]
	v_add_co_u32_e64 v20, s[2:3], v18, v20
	v_addc_co_u32_e64 v21, s[2:3], v19, v21, s[2:3]
	global_store_dword v[20:21], v3, off offset:4 glc slc
	s_or_b64 exec, exec, s[12:13]
	s_and_saveexec_b64 s[12:13], s[10:11]
	s_cbranch_execz .LBB2_108
.LBB2_132:
	v_ashrrev_i32_e32 v25, 31, v24
	v_lshlrev_b64 v[2:3], 2, v[24:25]
	v_add_co_u32_e64 v2, s[2:3], v13, v2
	v_addc_co_u32_e64 v3, s[2:3], v17, v3, s[2:3]
	global_store_dword v[2:3], v15, off offset:4 glc slc
	s_or_b64 exec, exec, s[12:13]
	s_and_saveexec_b64 s[12:13], s[8:9]
	s_cbranch_execz .LBB2_109
.LBB2_133:
	v_ashrrev_i32_e32 v25, 31, v24
	v_lshlrev_b64 v[2:3], 2, v[24:25]
	v_add_co_u32_e64 v2, s[2:3], v5, v2
	v_addc_co_u32_e64 v3, s[2:3], v9, v3, s[2:3]
	global_store_dword v[2:3], v11, off offset:4 glc slc
	s_or_b64 exec, exec, s[12:13]
	s_and_b64 exec, exec, s[6:7]
	s_cbranch_execnz .LBB2_110
	s_branch .LBB2_111
.LBB2_134:
	v_ashrrev_i32_e32 v25, 31, v24
	v_lshlrev_b64 v[2:3], 2, v[24:25]
	v_add_co_u32_e64 v2, s[0:1], v18, v2
	v_addc_co_u32_e64 v3, s[0:1], v19, v3, s[0:1]
	global_store_dword v[2:3], v4, off offset:8 glc slc
	s_or_b64 exec, exec, s[4:5]
	s_and_saveexec_b64 s[4:5], s[10:11]
	s_cbranch_execz .LBB2_114
.LBB2_135:
	v_ashrrev_i32_e32 v25, 31, v24
	v_lshlrev_b64 v[2:3], 2, v[24:25]
	v_add_co_u32_e64 v2, s[0:1], v13, v2
	v_addc_co_u32_e64 v3, s[0:1], v17, v3, s[0:1]
	global_store_dword v[2:3], v16, off offset:8 glc slc
	s_or_b64 exec, exec, s[4:5]
	s_and_saveexec_b64 s[4:5], s[8:9]
	s_cbranch_execz .LBB2_115
.LBB2_136:
	v_ashrrev_i32_e32 v25, 31, v24
	v_lshlrev_b64 v[2:3], 2, v[24:25]
	v_add_co_u32_e64 v2, s[0:1], v5, v2
	v_addc_co_u32_e64 v3, s[0:1], v9, v3, s[0:1]
	global_store_dword v[2:3], v12, off offset:8 glc slc
	s_or_b64 exec, exec, s[4:5]
	s_and_b64 exec, exec, s[6:7]
	s_cbranch_execnz .LBB2_116
	s_branch .LBB2_117
	.section	.rodata,"a",@progbits
	.p2align	6, 0x0
	.amdhsa_kernel _Z20gemm_bf16_f32_mfma_oPK14__hip_bfloat16PKfPfS1_iii
		.amdhsa_group_segment_fixed_size 17408
		.amdhsa_private_segment_fixed_size 0
		.amdhsa_kernarg_size 44
		.amdhsa_user_sgpr_count 6
		.amdhsa_user_sgpr_private_segment_buffer 1
		.amdhsa_user_sgpr_dispatch_ptr 0
		.amdhsa_user_sgpr_queue_ptr 0
		.amdhsa_user_sgpr_kernarg_segment_ptr 1
		.amdhsa_user_sgpr_dispatch_id 0
		.amdhsa_user_sgpr_flat_scratch_init 0
		.amdhsa_user_sgpr_kernarg_preload_length 0
		.amdhsa_user_sgpr_kernarg_preload_offset 0
		.amdhsa_user_sgpr_private_segment_size 0
		.amdhsa_uses_dynamic_stack 0
		.amdhsa_system_sgpr_private_segment_wavefront_offset 0
		.amdhsa_system_sgpr_workgroup_id_x 1
		.amdhsa_system_sgpr_workgroup_id_y 1
		.amdhsa_system_sgpr_workgroup_id_z 0
		.amdhsa_system_sgpr_workgroup_info 0
		.amdhsa_system_vgpr_workitem_id 0
		.amdhsa_next_free_vgpr 56
		.amdhsa_next_free_sgpr 35
		.amdhsa_accum_offset 56
		.amdhsa_reserve_vcc 1
		.amdhsa_reserve_flat_scratch 0
		.amdhsa_float_round_mode_32 0
		.amdhsa_float_round_mode_16_64 0
		.amdhsa_float_denorm_mode_32 3
		.amdhsa_float_denorm_mode_16_64 3
		.amdhsa_dx10_clamp 1
		.amdhsa_ieee_mode 1
		.amdhsa_fp16_overflow 0
		.amdhsa_tg_split 0
		.amdhsa_exception_fp_ieee_invalid_op 0
		.amdhsa_exception_fp_denorm_src 0
		.amdhsa_exception_fp_ieee_div_zero 0
		.amdhsa_exception_fp_ieee_overflow 0
		.amdhsa_exception_fp_ieee_underflow 0
		.amdhsa_exception_fp_ieee_inexact 0
		.amdhsa_exception_int_div_zero 0
	.end_amdhsa_kernel
	.text
.Lfunc_end2:
	.size	_Z20gemm_bf16_f32_mfma_oPK14__hip_bfloat16PKfPfS1_iii, .Lfunc_end2-_Z20gemm_bf16_f32_mfma_oPK14__hip_bfloat16PKfPfS1_iii
                                        ; -- End function
	.section	.AMDGPU.csdata,"",@progbits
; Kernel info:
; codeLenInByte = 3992
; NumSgprs: 39
; NumVgprs: 56
; NumAgprs: 0
; TotalNumVgprs: 56
; ScratchSize: 0
; MemoryBound: 0
; FloatMode: 240
; IeeeMode: 1
; LDSByteSize: 17408 bytes/workgroup (compile time only)
; SGPRBlocks: 4
; VGPRBlocks: 6
; NumSGPRsForWavesPerEU: 39
; NumVGPRsForWavesPerEU: 56
; AccumOffset: 56
; Occupancy: 8
; WaveLimiterHint : 0
; COMPUTE_PGM_RSRC2:SCRATCH_EN: 0
; COMPUTE_PGM_RSRC2:USER_SGPR: 6
; COMPUTE_PGM_RSRC2:TRAP_HANDLER: 0
; COMPUTE_PGM_RSRC2:TGID_X_EN: 1
; COMPUTE_PGM_RSRC2:TGID_Y_EN: 1
; COMPUTE_PGM_RSRC2:TGID_Z_EN: 0
; COMPUTE_PGM_RSRC2:TIDIG_COMP_CNT: 0
; COMPUTE_PGM_RSRC3_GFX90A:ACCUM_OFFSET: 13
; COMPUTE_PGM_RSRC3_GFX90A:TG_SPLIT: 0
	.text
	.protected	_Z22gemm_bf16_f32_mfma_qkvPK14__hip_bfloat16PKfPfS1_iii ; -- Begin function _Z22gemm_bf16_f32_mfma_qkvPK14__hip_bfloat16PKfPfS1_iii
	.globl	_Z22gemm_bf16_f32_mfma_qkvPK14__hip_bfloat16PKfPfS1_iii
	.p2align	8
	.type	_Z22gemm_bf16_f32_mfma_qkvPK14__hip_bfloat16PKfPfS1_iii,@function
_Z22gemm_bf16_f32_mfma_qkvPK14__hip_bfloat16PKfPfS1_iii: ; @_Z22gemm_bf16_f32_mfma_qkvPK14__hip_bfloat16PKfPfS1_iii
; %bb.0:
	s_load_dwordx2 s[8:9], s[4:5], 0x18
	s_load_dwordx4 s[16:19], s[4:5], 0x20
	v_lshrrev_b32_e32 v2, 2, v0
	s_lshl_b32 s28, s7, 8
	v_and_b32_e32 v1, 0xf0, v2
	s_mov_b32 s0, 0
	v_or_b32_e32 v10, s28, v1
	v_and_b32_e32 v38, 12, v2
	s_mov_b32 s2, s0
	s_mov_b32 s3, s0
	v_or_b32_e32 v24, v10, v38
	s_mov_b32 s1, s0
	v_pk_mov_b32 v[4:5], s[2:3], s[2:3] op_sel:[0,1]
	s_waitcnt lgkmcnt(0)
	v_cmp_gt_i32_e64 s[12:13], s16, v24
	v_pk_mov_b32 v[2:3], s[0:1], s[0:1] op_sel:[0,1]
	s_and_saveexec_b64 s[0:1], s[12:13]
	s_cbranch_execz .LBB3_2
; %bb.1:
	v_ashrrev_i32_e32 v25, 31, v24
	v_lshlrev_b64 v[2:3], 1, v[24:25]
	v_mov_b32_e32 v4, s9
	v_add_co_u32_e32 v2, vcc, s8, v2
	v_addc_co_u32_e32 v3, vcc, v4, v3, vcc
	global_load_ushort v2, v[2:3], off
	v_mov_b32_e32 v3, 0
	v_mov_b32_e32 v4, v3
	;; [unrolled: 1-line block ×3, first 2 shown]
	s_waitcnt vmcnt(0)
	v_lshlrev_b32_e32 v2, 16, v2
.LBB3_2:
	s_or_b64 exec, exec, s[0:1]
	v_or_b32_e32 v6, 1, v24
	v_cmp_gt_i32_e64 s[2:3], s16, v6
	s_and_saveexec_b64 s[0:1], s[2:3]
	s_cbranch_execz .LBB3_4
; %bb.3:
	v_ashrrev_i32_e32 v25, 31, v24
	v_lshlrev_b64 v[6:7], 1, v[24:25]
	v_mov_b32_e32 v3, s9
	v_add_co_u32_e32 v6, vcc, s8, v6
	v_addc_co_u32_e32 v7, vcc, v3, v7, vcc
	global_load_ushort v3, v[6:7], off offset:2
	s_waitcnt vmcnt(0)
	v_lshlrev_b32_e32 v3, 16, v3
.LBB3_4:
	s_or_b64 exec, exec, s[0:1]
	v_or_b32_e32 v6, 2, v24
	v_cmp_gt_i32_e64 s[0:1], s16, v6
	s_and_saveexec_b64 s[10:11], s[0:1]
	s_cbranch_execz .LBB3_6
; %bb.5:
	v_ashrrev_i32_e32 v25, 31, v24
	v_lshlrev_b64 v[6:7], 1, v[24:25]
	v_mov_b32_e32 v4, s9
	v_add_co_u32_e32 v6, vcc, s8, v6
	v_addc_co_u32_e32 v7, vcc, v4, v7, vcc
	global_load_ushort v4, v[6:7], off offset:4
	s_waitcnt vmcnt(0)
	v_lshlrev_b32_e32 v4, 16, v4
.LBB3_6:
	s_or_b64 exec, exec, s[10:11]
	s_load_dwordx2 s[10:11], s[4:5], 0x8
	v_or_b32_e32 v6, 3, v24
	v_cmp_le_i32_e64 s[14:15], s16, v6
	v_cmp_gt_i32_e32 vcc, s16, v6
	s_and_saveexec_b64 s[20:21], vcc
	s_cbranch_execz .LBB3_8
; %bb.7:
	v_ashrrev_i32_e32 v25, 31, v24
	v_lshlrev_b64 v[6:7], 1, v[24:25]
	v_mov_b32_e32 v5, s9
	v_add_co_u32_e32 v6, vcc, s8, v6
	v_addc_co_u32_e32 v7, vcc, v5, v7, vcc
	global_load_ushort v5, v[6:7], off offset:6
	s_waitcnt vmcnt(0)
	v_lshlrev_b32_e32 v5, 16, v5
.LBB3_8:
	s_or_b64 exec, exec, s[20:21]
	s_load_dwordx2 s[22:23], s[4:5], 0x0
	s_load_dwordx2 s[20:21], s[4:5], 0x10
	s_lshl_b32 s19, s6, 6
	v_lshrrev_b32_e32 v15, 4, v0
	v_lshlrev_b32_e32 v6, 2, v0
	v_and_b32_e32 v11, 60, v6
	v_or_b32_e32 v13, s19, v15
	v_cmp_gt_i32_e64 s[8:9], s17, v13
	v_cmp_gt_i32_e32 vcc, s18, v11
	s_and_b64 s[4:5], s[8:9], vcc
	v_mov_b32_e32 v7, 0
	v_ashrrev_i32_e32 v14, 31, v13
	v_lshlrev_b32_e32 v12, 2, v11
	v_mov_b32_e32 v6, 0
	s_and_saveexec_b64 s[6:7], s[4:5]
	s_xor_b64 s[4:5], exec, s[6:7]
	s_cbranch_execz .LBB3_26
; %bb.9:
	v_mad_u64_u32 v[6:7], s[6:7], s18, v13, 0
	v_mov_b32_e32 v8, v7
	v_mad_u64_u32 v[8:9], s[6:7], s18, v14, v[8:9]
	v_mov_b32_e32 v7, v8
	v_lshlrev_b64 v[6:7], 2, v[6:7]
	s_waitcnt lgkmcnt(0)
	v_mov_b32_e32 v8, s11
	v_add_co_u32_e32 v6, vcc, s10, v6
	v_addc_co_u32_e32 v7, vcc, v8, v7, vcc
	v_add_co_u32_e32 v6, vcc, v6, v12
	v_addc_co_u32_e32 v7, vcc, 0, v7, vcc
	global_load_dwordx4 v[6:9], v[6:7], off
	s_mov_b32 s6, 0x7f800000
	s_waitcnt vmcnt(0)
	v_and_b32_e32 v16, 0x7f800000, v6
	v_cmp_ne_u32_e32 vcc, s6, v16
                                        ; implicit-def: $vgpr16
	s_and_saveexec_b64 s[6:7], vcc
	s_xor_b64 s[6:7], exec, s[6:7]
; %bb.10:
	v_bfe_u32 v16, v6, 16, 1
	s_movk_i32 s24, 0x7fff
	v_add3_u32 v16, v6, v16, s24
; %bb.11:
	s_andn2_saveexec_b64 s[6:7], s[6:7]
; %bb.12:
	v_mov_b32_e32 v16, 0
	v_or_b32_e32 v17, 0x10000, v6
	v_cmp_eq_u32_sdwa vcc, v6, v16 src0_sel:WORD_0 src1_sel:DWORD
	v_cndmask_b32_e32 v16, v17, v6, vcc
; %bb.13:
	s_or_b64 exec, exec, s[6:7]
	s_mov_b32 s6, 0x7f800000
	v_and_b32_e32 v6, 0x7f800000, v7
	v_cmp_ne_u32_e32 vcc, s6, v6
                                        ; implicit-def: $vgpr17
	s_and_saveexec_b64 s[6:7], vcc
	s_xor_b64 s[6:7], exec, s[6:7]
; %bb.14:
	v_bfe_u32 v6, v7, 16, 1
	s_movk_i32 s24, 0x7fff
	v_add3_u32 v17, v7, v6, s24
; %bb.15:
	s_andn2_saveexec_b64 s[6:7], s[6:7]
; %bb.16:
	v_mov_b32_e32 v6, 0
	v_or_b32_e32 v17, 0x10000, v7
	v_cmp_eq_u32_sdwa vcc, v7, v6 src0_sel:WORD_0 src1_sel:DWORD
	v_cndmask_b32_e32 v17, v17, v7, vcc
; %bb.17:
	s_or_b64 exec, exec, s[6:7]
	s_mov_b32 s6, 0x7f800000
	v_and_b32_e32 v6, 0x7f800000, v8
	v_cmp_ne_u32_e32 vcc, s6, v6
                                        ; implicit-def: $vgpr18
	s_and_saveexec_b64 s[6:7], vcc
	s_xor_b64 s[6:7], exec, s[6:7]
; %bb.18:
	v_bfe_u32 v6, v8, 16, 1
	s_movk_i32 s24, 0x7fff
	v_add3_u32 v18, v8, v6, s24
; %bb.19:
	s_andn2_saveexec_b64 s[6:7], s[6:7]
; %bb.20:
	v_mov_b32_e32 v6, 0
	v_or_b32_e32 v7, 0x10000, v8
	v_cmp_eq_u32_sdwa vcc, v8, v6 src0_sel:WORD_0 src1_sel:DWORD
	v_cndmask_b32_e32 v18, v7, v8, vcc
; %bb.21:
	s_or_b64 exec, exec, s[6:7]
	s_mov_b32 s6, 0x7f800000
	v_and_b32_e32 v6, 0x7f800000, v9
	v_cmp_ne_u32_e32 vcc, s6, v6
                                        ; implicit-def: $vgpr19
	s_and_saveexec_b64 s[6:7], vcc
	s_xor_b64 s[6:7], exec, s[6:7]
; %bb.22:
	v_bfe_u32 v6, v9, 16, 1
	s_movk_i32 s24, 0x7fff
	v_add3_u32 v19, v9, v6, s24
                                        ; implicit-def: $vgpr6_vgpr7_vgpr8_vgpr9
; %bb.23:
	s_andn2_saveexec_b64 s[6:7], s[6:7]
; %bb.24:
	v_mov_b32_e32 v6, 0
	v_or_b32_e32 v7, 0x10000, v9
	v_cmp_eq_u32_sdwa vcc, v9, v6 src0_sel:WORD_0 src1_sel:DWORD
	v_cndmask_b32_e32 v19, v7, v9, vcc
; %bb.25:
	s_or_b64 exec, exec, s[6:7]
	s_mov_b32 s6, 0x7060302
	v_perm_b32 v6, v17, v16, s6
	v_perm_b32 v7, v19, v18, s6
.LBB3_26:
	s_or_b64 exec, exec, s[4:5]
	s_movk_i32 s4, 0x44
	v_mad_u32_u24 v39, v15, s4, v11
	v_and_b32_e32 v25, 15, v0
	s_mov_b32 s24, 1
	v_lshlrev_b32_e32 v8, 1, v39
	s_cmp_lt_i32 s18, 1
	ds_write_b64 v8, v[6:7]
	s_waitcnt lgkmcnt(0)
	s_barrier
	s_cbranch_scc1 .LBB3_97
; %bb.27:
	s_add_i32 s4, s18, 63
	s_ashr_i32 s5, s4, 31
	s_lshr_b32 s5, s5, 26
	s_add_i32 s4, s4, s5
	s_ashr_i32 s25, s4, 6
	v_mad_u64_u32 v[6:7], s[4:5], s18, v13, 0
	v_mov_b32_e32 v8, v7
	v_mad_u64_u32 v[8:9], s[4:5], s18, v14, v[8:9]
	v_mov_b32_e32 v7, v8
	v_lshlrev_b64 v[6:7], 2, v[6:7]
	v_mov_b32_e32 v8, s11
	v_add_co_u32_e32 v6, vcc, s10, v6
	v_addc_co_u32_e32 v7, vcc, v8, v7, vcc
	v_add_co_u32_e32 v6, vcc, v6, v12
	v_addc_co_u32_e32 v7, vcc, 0, v7, vcc
	s_movk_i32 s5, 0x100
	s_max_i32 s4, s25, 1
	v_add_co_u32_e32 v26, vcc, s5, v6
	v_add3_u32 v1, s28, v1, v25
	v_or_b32_e32 v8, v10, v25
	v_addc_co_u32_e32 v27, vcc, 0, v7, vcc
	s_lshl_b32 s27, s4, 6
	v_mad_u64_u32 v[6:7], s[4:5], v1, s18, 0
	v_cmp_gt_i32_e64 s[10:11], s16, v8
	v_ashrrev_i32_e32 v9, 31, v1
	v_mov_b32_e32 v8, v7
	v_mad_u64_u32 v[8:9], s[4:5], v9, s18, v[8:9]
	v_mov_b32_e32 v7, v8
	v_lshrrev_b32_e32 v0, 1, v0
	v_lshlrev_b64 v[6:7], 1, v[6:7]
	v_and_b32_e32 v0, 24, v0
	v_add_co_u32_e32 v0, vcc, v6, v0
	v_addc_co_u32_e32 v1, vcc, 0, v7, vcc
	v_mov_b32_e32 v6, s23
	v_add_co_u32_e32 v0, vcc, s22, v0
	v_addc_co_u32_e32 v1, vcc, v1, v6, vcc
	s_movk_i32 s4, 0x64
	v_or_b32_e32 v41, 64, v11
	v_add_co_u32_e32 v28, vcc, s4, v0
	v_pk_mov_b32 v[16:17], v[4:5], v[4:5] op_sel:[0,1]
	v_pk_mov_b32 v[12:13], v[4:5], v[4:5] op_sel:[0,1]
	;; [unrolled: 1-line block ×3, first 2 shown]
	s_mov_b32 s26, 0
	v_mul_u32_u24_e32 v40, 0x88, v25
	v_addc_co_u32_e32 v29, vcc, 0, v1, vcc
	s_mov_b32 s28, 0x7f800000
	s_movk_i32 s29, 0x7fff
	s_mov_b32 s30, 0xffff
	s_mov_b32 s31, 0x7060302
	s_mov_b32 s33, 0x5040100
	v_mov_b32_e32 v42, 0
	v_pk_mov_b32 v[14:15], v[2:3], v[2:3] op_sel:[0,1]
	v_pk_mov_b32 v[10:11], v[2:3], v[2:3] op_sel:[0,1]
	;; [unrolled: 1-line block ×3, first 2 shown]
	s_branch .LBB3_30
.LBB3_28:                               ;   in Loop: Header=BB3_30 Depth=1
	s_or_b64 exec, exec, s[6:7]
.LBB3_29:                               ;   in Loop: Header=BB3_30 Depth=1
	s_or_b64 exec, exec, s[4:5]
	ds_read2_b64 v[16:19], v43 offset0:8 offset1:12
	v_add_co_u32_e32 v26, vcc, 0x100, v26
	v_addc_co_u32_e32 v27, vcc, 0, v27, vcc
	s_waitcnt vmcnt(0) lgkmcnt(0)
	v_mfma_f32_16x16x16bf16_1k v[12:15], v[34:35], v[16:17], v[12:15]
	v_add_u32_e32 v16, 0x880, v43
	ds_read2_b64 v[20:23], v16 offset0:8 offset1:12
	v_add_u32_e32 v16, 0x1100, v43
	ds_read2_b64 v[44:47], v16 offset0:8 offset1:12
	s_add_i32 s26, s26, 64
	s_add_i32 s24, s24, 1
	v_add_co_u32_e32 v28, vcc, 0x80, v28
	s_waitcnt lgkmcnt(0)
	v_mfma_f32_16x16x16bf16_1k v[48:51], v[34:35], v[44:45], v[0:3]
	v_addc_co_u32_e32 v29, vcc, 0, v29, vcc
	s_cmp_eq_u32 s27, s26
	s_nop 4
	v_add_u32_e32 v0, 0x1980, v43
	ds_read2_b64 v[52:55], v0 offset0:8 offset1:12
	v_mfma_f32_16x16x16bf16_1k v[8:11], v[34:35], v[20:21], v[8:11]
	s_waitcnt lgkmcnt(0)
	s_barrier
	v_mfma_f32_16x16x16bf16_1k v[34:37], v[34:35], v[52:53], v[4:7]
	v_mfma_f32_16x16x16bf16_1k v[2:5], v[32:33], v[18:19], v[12:15]
	;; [unrolled: 1-line block ×5, first 2 shown]
	s_cbranch_scc1 .LBB3_98
.LBB3_30:                               ; =>This Inner Loop Header: Depth=1
	s_add_i32 s4, s24, -1
	s_and_b32 s34, s4, 1
	s_cmp_ge_i32 s24, s25
	s_cbranch_scc1 .LBB3_50
; %bb.31:                               ;   in Loop: Header=BB3_30 Depth=1
	v_add_u32_e32 v0, s26, v41
	v_cmp_gt_i32_e32 vcc, s18, v0
	s_and_b64 s[6:7], s[8:9], vcc
	v_mov_b32_e32 v1, 0
	v_mov_b32_e32 v0, 0
	s_and_saveexec_b64 s[4:5], s[6:7]
	s_cbranch_execz .LBB3_49
; %bb.32:                               ;   in Loop: Header=BB3_30 Depth=1
	global_load_dwordx4 v[18:21], v[26:27], off
	s_waitcnt vmcnt(0)
	v_and_b32_e32 v0, 0x7f800000, v18
	v_cmp_ne_u32_e32 vcc, s28, v0
                                        ; implicit-def: $vgpr0
	s_and_saveexec_b64 s[6:7], vcc
	s_xor_b64 s[6:7], exec, s[6:7]
; %bb.33:                               ;   in Loop: Header=BB3_30 Depth=1
	v_bfe_u32 v0, v18, 16, 1
	v_add3_u32 v0, v18, v0, s29
; %bb.34:                               ;   in Loop: Header=BB3_30 Depth=1
	s_andn2_saveexec_b64 s[6:7], s[6:7]
; %bb.35:                               ;   in Loop: Header=BB3_30 Depth=1
	v_or_b32_e32 v0, 0x10000, v18
	v_cmp_eq_u32_sdwa vcc, v18, v42 src0_sel:WORD_0 src1_sel:DWORD
	v_cndmask_b32_e32 v0, v0, v18, vcc
; %bb.36:                               ;   in Loop: Header=BB3_30 Depth=1
	s_or_b64 exec, exec, s[6:7]
	v_and_b32_e32 v1, 0x7f800000, v19
	v_cmp_ne_u32_e32 vcc, s28, v1
                                        ; implicit-def: $vgpr1
	s_and_saveexec_b64 s[6:7], vcc
	s_xor_b64 s[6:7], exec, s[6:7]
; %bb.37:                               ;   in Loop: Header=BB3_30 Depth=1
	v_bfe_u32 v1, v19, 16, 1
	v_add3_u32 v1, v19, v1, s29
; %bb.38:                               ;   in Loop: Header=BB3_30 Depth=1
	s_andn2_saveexec_b64 s[6:7], s[6:7]
; %bb.39:                               ;   in Loop: Header=BB3_30 Depth=1
	v_or_b32_e32 v1, 0x10000, v19
	v_cmp_eq_u32_sdwa vcc, v19, v42 src0_sel:WORD_0 src1_sel:DWORD
	v_cndmask_b32_e32 v1, v1, v19, vcc
; %bb.40:                               ;   in Loop: Header=BB3_30 Depth=1
	s_or_b64 exec, exec, s[6:7]
	v_and_b32_e32 v18, 0x7f800000, v20
	v_cmp_ne_u32_e32 vcc, s28, v18
                                        ; implicit-def: $vgpr22
	s_and_saveexec_b64 s[6:7], vcc
	s_xor_b64 s[6:7], exec, s[6:7]
; %bb.41:                               ;   in Loop: Header=BB3_30 Depth=1
	v_bfe_u32 v18, v20, 16, 1
	v_add3_u32 v22, v20, v18, s29
; %bb.42:                               ;   in Loop: Header=BB3_30 Depth=1
	s_andn2_saveexec_b64 s[6:7], s[6:7]
; %bb.43:                               ;   in Loop: Header=BB3_30 Depth=1
	v_or_b32_e32 v18, 0x10000, v20
	v_cmp_eq_u32_sdwa vcc, v20, v42 src0_sel:WORD_0 src1_sel:DWORD
	v_cndmask_b32_e32 v22, v18, v20, vcc
; %bb.44:                               ;   in Loop: Header=BB3_30 Depth=1
	s_or_b64 exec, exec, s[6:7]
	v_and_b32_e32 v18, 0x7f800000, v21
	v_cmp_ne_u32_e32 vcc, s28, v18
                                        ; implicit-def: $vgpr23
	s_and_saveexec_b64 s[6:7], vcc
	s_xor_b64 s[6:7], exec, s[6:7]
; %bb.45:                               ;   in Loop: Header=BB3_30 Depth=1
	v_bfe_u32 v18, v21, 16, 1
	v_add3_u32 v23, v21, v18, s29
                                        ; implicit-def: $vgpr18_vgpr19_vgpr20_vgpr21
; %bb.46:                               ;   in Loop: Header=BB3_30 Depth=1
	s_andn2_saveexec_b64 s[6:7], s[6:7]
; %bb.47:                               ;   in Loop: Header=BB3_30 Depth=1
	v_or_b32_e32 v18, 0x10000, v21
	v_cmp_eq_u32_sdwa vcc, v21, v42 src0_sel:WORD_0 src1_sel:DWORD
	v_cndmask_b32_e32 v23, v18, v21, vcc
; %bb.48:                               ;   in Loop: Header=BB3_30 Depth=1
	s_or_b64 exec, exec, s[6:7]
	v_perm_b32 v0, v1, v0, s31
	v_perm_b32 v1, v23, v22, s31
.LBB3_49:                               ;   in Loop: Header=BB3_30 Depth=1
	s_or_b64 exec, exec, s[4:5]
	s_xor_b32 s4, s34, 1
	s_mulk_i32 s4, 0x2200
	v_lshl_add_u32 v18, v39, 1, s4
	ds_write_b64 v18, v[0:1]
.LBB3_50:                               ;   in Loop: Header=BB3_30 Depth=1
	v_mov_b32_e32 v30, 0
	s_nop 0
	v_mov_b32_e32 v36, 0
	v_mov_b32_e32 v37, 0
	s_and_saveexec_b64 s[4:5], s[10:11]
	s_cbranch_execz .LBB3_62
; %bb.51:                               ;   in Loop: Header=BB3_30 Depth=1
	v_add_u32_e32 v0, s26, v38
	v_add_u32_e32 v1, 3, v0
	v_cmp_le_i32_e32 vcc, s18, v1
                                        ; implicit-def: $vgpr37
	s_and_saveexec_b64 s[6:7], vcc
	s_xor_b64 s[6:7], exec, s[6:7]
	s_cbranch_execz .LBB3_59
; %bb.52:                               ;   in Loop: Header=BB3_30 Depth=1
	v_cmp_gt_i32_e32 vcc, s18, v0
	v_mov_b32_e32 v37, 0
	v_mov_b32_e32 v36, 0
	s_and_saveexec_b64 s[22:23], vcc
	s_cbranch_execz .LBB3_54
; %bb.53:                               ;   in Loop: Header=BB3_30 Depth=1
	global_load_ushort v1, v[28:29], off offset:-100
	s_waitcnt vmcnt(0)
	v_and_b32_e32 v36, 0xffff, v1
.LBB3_54:                               ;   in Loop: Header=BB3_30 Depth=1
	s_or_b64 exec, exec, s[22:23]
	v_add_u32_e32 v1, 1, v0
	v_cmp_gt_i32_e32 vcc, s18, v1
	s_and_saveexec_b64 s[22:23], vcc
	s_cbranch_execz .LBB3_56
; %bb.55:                               ;   in Loop: Header=BB3_30 Depth=1
	global_load_ushort v1, v[28:29], off offset:-98
	s_waitcnt vmcnt(0)
	v_perm_b32 v36, v1, v36, s33
.LBB3_56:                               ;   in Loop: Header=BB3_30 Depth=1
	s_or_b64 exec, exec, s[22:23]
	v_add_u32_e32 v0, 2, v0
	v_cmp_gt_i32_e32 vcc, s18, v0
	s_and_saveexec_b64 s[22:23], vcc
	s_cbranch_execz .LBB3_58
; %bb.57:                               ;   in Loop: Header=BB3_30 Depth=1
	global_load_ushort v0, v[28:29], off offset:-96
	s_waitcnt vmcnt(0)
	v_bfi_b32 v37, s30, v0, v37
.LBB3_58:                               ;   in Loop: Header=BB3_30 Depth=1
	s_or_b64 exec, exec, s[22:23]
.LBB3_59:                               ;   in Loop: Header=BB3_30 Depth=1
	s_andn2_saveexec_b64 s[6:7], s[6:7]
	s_cbranch_execz .LBB3_61
; %bb.60:                               ;   in Loop: Header=BB3_30 Depth=1
	global_load_dwordx2 v[36:37], v[28:29], off offset:-100
.LBB3_61:                               ;   in Loop: Header=BB3_30 Depth=1
	s_or_b64 exec, exec, s[6:7]
.LBB3_62:                               ;   in Loop: Header=BB3_30 Depth=1
	s_or_b64 exec, exec, s[4:5]
	v_mov_b32_e32 v31, 0
	s_and_saveexec_b64 s[4:5], s[10:11]
	s_cbranch_execz .LBB3_74
; %bb.63:                               ;   in Loop: Header=BB3_30 Depth=1
	v_add_u32_e32 v0, s26, v38
	v_add_u32_e32 v1, 19, v0
	v_cmp_le_i32_e32 vcc, s18, v1
                                        ; implicit-def: $vgpr31
	s_and_saveexec_b64 s[6:7], vcc
	s_xor_b64 s[6:7], exec, s[6:7]
	s_cbranch_execz .LBB3_71
; %bb.64:                               ;   in Loop: Header=BB3_30 Depth=1
	v_add_u32_e32 v1, 16, v0
	v_cmp_gt_i32_e32 vcc, s18, v1
	v_mov_b32_e32 v31, 0
	v_mov_b32_e32 v30, 0
	s_and_saveexec_b64 s[22:23], vcc
	s_cbranch_execz .LBB3_66
; %bb.65:                               ;   in Loop: Header=BB3_30 Depth=1
	global_load_ushort v1, v[28:29], off offset:-68
	s_waitcnt vmcnt(0)
	v_and_b32_e32 v30, 0xffff, v1
.LBB3_66:                               ;   in Loop: Header=BB3_30 Depth=1
	s_or_b64 exec, exec, s[22:23]
	v_add_u32_e32 v1, 17, v0
	v_cmp_gt_i32_e32 vcc, s18, v1
	s_and_saveexec_b64 s[22:23], vcc
	s_cbranch_execz .LBB3_68
; %bb.67:                               ;   in Loop: Header=BB3_30 Depth=1
	global_load_ushort v1, v[28:29], off offset:-66
	s_waitcnt vmcnt(0)
	v_perm_b32 v30, v1, v30, s33
.LBB3_68:                               ;   in Loop: Header=BB3_30 Depth=1
	s_or_b64 exec, exec, s[22:23]
	v_add_u32_e32 v0, 18, v0
	v_cmp_gt_i32_e32 vcc, s18, v0
	s_and_saveexec_b64 s[22:23], vcc
	s_cbranch_execz .LBB3_70
; %bb.69:                               ;   in Loop: Header=BB3_30 Depth=1
	global_load_ushort v0, v[28:29], off offset:-64
	s_waitcnt vmcnt(0)
	v_bfi_b32 v31, s30, v0, v31
.LBB3_70:                               ;   in Loop: Header=BB3_30 Depth=1
	s_or_b64 exec, exec, s[22:23]
.LBB3_71:                               ;   in Loop: Header=BB3_30 Depth=1
	s_andn2_saveexec_b64 s[6:7], s[6:7]
	s_cbranch_execz .LBB3_73
; %bb.72:                               ;   in Loop: Header=BB3_30 Depth=1
	global_load_dwordx2 v[30:31], v[28:29], off offset:-68
.LBB3_73:                               ;   in Loop: Header=BB3_30 Depth=1
	s_or_b64 exec, exec, s[6:7]
.LBB3_74:                               ;   in Loop: Header=BB3_30 Depth=1
	s_or_b64 exec, exec, s[4:5]
	s_mulk_i32 s34, 0x2200
	v_add_u32_e32 v0, s34, v40
	v_lshl_add_u32 v43, v38, 1, v0
	ds_read_b64 v[0:1], v43
	ds_read_b64 v[18:19], v43 offset:2176
	ds_read_b64 v[20:21], v43 offset:4352
	;; [unrolled: 1-line block ×3, first 2 shown]
	v_mov_b32_e32 v32, 0
	s_waitcnt vmcnt(0) lgkmcnt(3)
	v_mfma_f32_16x16x16bf16_1k v[0:3], v[36:37], v[0:1], v[2:5]
	v_mov_b32_e32 v34, 0
	v_mov_b32_e32 v35, 0
	s_waitcnt lgkmcnt(2)
	v_mfma_f32_16x16x16bf16_1k v[16:19], v[36:37], v[18:19], v[14:17]
	s_waitcnt lgkmcnt(1)
	v_mfma_f32_16x16x16bf16_1k v[20:23], v[36:37], v[20:21], v[10:13]
	;; [unrolled: 2-line block ×3, first 2 shown]
	s_and_saveexec_b64 s[4:5], s[10:11]
	s_cbranch_execz .LBB3_86
; %bb.75:                               ;   in Loop: Header=BB3_30 Depth=1
	s_nop 4
	v_add_u32_e32 v8, s26, v38
	v_add_u32_e32 v9, 35, v8
	v_cmp_le_i32_e32 vcc, s18, v9
                                        ; implicit-def: $vgpr35
	s_and_saveexec_b64 s[6:7], vcc
	s_xor_b64 s[6:7], exec, s[6:7]
	s_cbranch_execz .LBB3_83
; %bb.76:                               ;   in Loop: Header=BB3_30 Depth=1
	v_add_u32_e32 v9, 32, v8
	v_cmp_gt_i32_e32 vcc, s18, v9
	v_mov_b32_e32 v35, 0
	v_mov_b32_e32 v34, 0
	s_and_saveexec_b64 s[22:23], vcc
	s_cbranch_execz .LBB3_78
; %bb.77:                               ;   in Loop: Header=BB3_30 Depth=1
	global_load_ushort v9, v[28:29], off offset:-36
	s_waitcnt vmcnt(0)
	v_and_b32_e32 v34, 0xffff, v9
.LBB3_78:                               ;   in Loop: Header=BB3_30 Depth=1
	s_or_b64 exec, exec, s[22:23]
	v_add_u32_e32 v9, 33, v8
	v_cmp_gt_i32_e32 vcc, s18, v9
	s_and_saveexec_b64 s[22:23], vcc
	s_cbranch_execz .LBB3_80
; %bb.79:                               ;   in Loop: Header=BB3_30 Depth=1
	global_load_ushort v9, v[28:29], off offset:-34
	s_waitcnt vmcnt(0)
	v_perm_b32 v34, v9, v34, s33
.LBB3_80:                               ;   in Loop: Header=BB3_30 Depth=1
	s_or_b64 exec, exec, s[22:23]
	v_add_u32_e32 v8, 34, v8
	v_cmp_gt_i32_e32 vcc, s18, v8
	s_and_saveexec_b64 s[22:23], vcc
	s_cbranch_execz .LBB3_82
; %bb.81:                               ;   in Loop: Header=BB3_30 Depth=1
	global_load_ushort v8, v[28:29], off offset:-32
	s_waitcnt vmcnt(0)
	v_bfi_b32 v35, s30, v8, v35
.LBB3_82:                               ;   in Loop: Header=BB3_30 Depth=1
	s_or_b64 exec, exec, s[22:23]
.LBB3_83:                               ;   in Loop: Header=BB3_30 Depth=1
	s_andn2_saveexec_b64 s[6:7], s[6:7]
	s_cbranch_execz .LBB3_85
; %bb.84:                               ;   in Loop: Header=BB3_30 Depth=1
	global_load_dwordx2 v[34:35], v[28:29], off offset:-36
.LBB3_85:                               ;   in Loop: Header=BB3_30 Depth=1
	s_or_b64 exec, exec, s[6:7]
.LBB3_86:                               ;   in Loop: Header=BB3_30 Depth=1
	s_or_b64 exec, exec, s[4:5]
	s_nop 3
	ds_read_b64 v[8:9], v43 offset:32
	ds_read_b64 v[10:11], v43 offset:2208
	ds_read_b64 v[36:37], v43 offset:4384
	ds_read_b64 v[44:45], v43 offset:6560
	v_mov_b32_e32 v33, 0
	s_waitcnt lgkmcnt(3)
	v_mfma_f32_16x16x16bf16_1k v[12:15], v[30:31], v[8:9], v[0:3]
	s_waitcnt lgkmcnt(2)
	v_mfma_f32_16x16x16bf16_1k v[8:11], v[30:31], v[10:11], v[16:19]
	;; [unrolled: 2-line block ×4, first 2 shown]
	s_and_saveexec_b64 s[4:5], s[10:11]
	s_cbranch_execz .LBB3_29
; %bb.87:                               ;   in Loop: Header=BB3_30 Depth=1
	s_nop 0
	v_add_u32_e32 v16, s26, v38
	v_add_u32_e32 v17, 51, v16
	v_cmp_le_i32_e32 vcc, s18, v17
                                        ; implicit-def: $vgpr33
	s_and_saveexec_b64 s[6:7], vcc
	s_xor_b64 s[6:7], exec, s[6:7]
	s_cbranch_execz .LBB3_95
; %bb.88:                               ;   in Loop: Header=BB3_30 Depth=1
	v_add_u32_e32 v17, 48, v16
	v_cmp_gt_i32_e32 vcc, s18, v17
	v_mov_b32_e32 v33, 0
	v_mov_b32_e32 v32, 0
	s_and_saveexec_b64 s[22:23], vcc
	s_cbranch_execz .LBB3_90
; %bb.89:                               ;   in Loop: Header=BB3_30 Depth=1
	global_load_ushort v17, v[28:29], off offset:-4
	s_waitcnt vmcnt(0)
	v_and_b32_e32 v32, 0xffff, v17
.LBB3_90:                               ;   in Loop: Header=BB3_30 Depth=1
	s_or_b64 exec, exec, s[22:23]
	v_add_u32_e32 v17, 49, v16
	v_cmp_gt_i32_e32 vcc, s18, v17
	s_and_saveexec_b64 s[22:23], vcc
	s_cbranch_execz .LBB3_92
; %bb.91:                               ;   in Loop: Header=BB3_30 Depth=1
	global_load_ushort v17, v[28:29], off offset:-2
	s_waitcnt vmcnt(0)
	v_perm_b32 v32, v17, v32, s33
.LBB3_92:                               ;   in Loop: Header=BB3_30 Depth=1
	s_or_b64 exec, exec, s[22:23]
	v_add_u32_e32 v16, 50, v16
	v_cmp_gt_i32_e32 vcc, s18, v16
	s_and_saveexec_b64 s[22:23], vcc
	s_cbranch_execz .LBB3_94
; %bb.93:                               ;   in Loop: Header=BB3_30 Depth=1
	global_load_ushort v16, v[28:29], off
	s_waitcnt vmcnt(0)
	v_bfi_b32 v33, s30, v16, v33
.LBB3_94:                               ;   in Loop: Header=BB3_30 Depth=1
	s_or_b64 exec, exec, s[22:23]
.LBB3_95:                               ;   in Loop: Header=BB3_30 Depth=1
	s_andn2_saveexec_b64 s[6:7], s[6:7]
	s_cbranch_execz .LBB3_28
; %bb.96:                               ;   in Loop: Header=BB3_30 Depth=1
	global_load_dwordx2 v[32:33], v[28:29], off offset:-4
	s_branch .LBB3_28
.LBB3_97:
	v_pk_mov_b32 v[16:17], v[4:5], v[4:5] op_sel:[0,1]
	v_pk_mov_b32 v[12:13], v[4:5], v[4:5] op_sel:[0,1]
	;; [unrolled: 1-line block ×6, first 2 shown]
.LBB3_98:
	v_or_b32_e32 v18, s19, v25
	v_or_b32_e32 v20, 16, v18
	;; [unrolled: 1-line block ×4, first 2 shown]
	v_cmp_gt_i32_e32 vcc, s17, v18
	s_and_saveexec_b64 s[4:5], s[14:15]
	s_xor_b64 s[14:15], exec, s[4:5]
	s_cbranch_execz .LBB3_118
; %bb.99:
	v_mad_i64_i32 v[18:19], s[4:5], s16, v18, 0
	v_lshlrev_b64 v[18:19], 2, v[18:19]
	v_mov_b32_e32 v22, s21
	v_add_co_u32_e64 v18, s[4:5], s20, v18
	v_addc_co_u32_e64 v19, s[4:5], v22, v19, s[4:5]
	v_cmp_gt_i32_e64 s[10:11], s17, v20
	v_mad_i64_i32 v[20:21], s[4:5], s16, v20, 0
	v_lshlrev_b64 v[20:21], 2, v[20:21]
	v_add_co_u32_e64 v13, s[4:5], s20, v20
	v_addc_co_u32_e64 v17, s[4:5], v22, v21, s[4:5]
	v_mad_i64_i32 v[20:21], s[4:5], s16, v1, 0
	v_lshlrev_b64 v[20:21], 2, v[20:21]
	v_add_co_u32_e64 v5, s[4:5], s20, v20
	v_cmp_gt_i32_e64 s[8:9], s17, v1
	v_addc_co_u32_e64 v9, s[4:5], v22, v21, s[4:5]
	v_cmp_gt_i32_e64 s[6:7], s17, v0
	v_mad_i64_i32 v[0:1], s[4:5], s16, v0, 0
	v_lshlrev_b64 v[0:1], 2, v[0:1]
	v_add_co_u32_e64 v0, s[4:5], s20, v0
	v_addc_co_u32_e64 v1, s[4:5], v22, v1, s[4:5]
	s_and_saveexec_b64 s[18:19], s[12:13]
	s_cbranch_execz .LBB3_105
; %bb.100:
	s_and_saveexec_b64 s[12:13], vcc
	s_cbranch_execnz .LBB3_128
; %bb.101:
	s_or_b64 exec, exec, s[12:13]
	s_and_saveexec_b64 s[12:13], s[10:11]
	s_cbranch_execnz .LBB3_129
.LBB3_102:
	s_or_b64 exec, exec, s[12:13]
	s_and_saveexec_b64 s[12:13], s[8:9]
	s_cbranch_execnz .LBB3_130
.LBB3_103:
	s_or_b64 exec, exec, s[12:13]
	s_and_b64 exec, exec, s[6:7]
	s_cbranch_execz .LBB3_105
.LBB3_104:
	v_ashrrev_i32_e32 v25, 31, v24
	v_lshlrev_b64 v[20:21], 2, v[24:25]
	v_add_co_u32_e64 v20, s[4:5], v0, v20
	v_addc_co_u32_e64 v21, s[4:5], v1, v21, s[4:5]
	global_store_dword v[20:21], v6, off glc slc
.LBB3_105:
	s_or_b64 exec, exec, s[18:19]
	s_and_saveexec_b64 s[4:5], s[2:3]
	s_cbranch_execz .LBB3_111
; %bb.106:
	s_and_saveexec_b64 s[12:13], vcc
	s_cbranch_execnz .LBB3_131
; %bb.107:
	s_or_b64 exec, exec, s[12:13]
	s_and_saveexec_b64 s[12:13], s[10:11]
	s_cbranch_execnz .LBB3_132
.LBB3_108:
	s_or_b64 exec, exec, s[12:13]
	s_and_saveexec_b64 s[12:13], s[8:9]
	s_cbranch_execnz .LBB3_133
.LBB3_109:
	s_or_b64 exec, exec, s[12:13]
	s_and_b64 exec, exec, s[6:7]
	s_cbranch_execz .LBB3_111
.LBB3_110:
	v_ashrrev_i32_e32 v25, 31, v24
	v_lshlrev_b64 v[2:3], 2, v[24:25]
	v_add_co_u32_e64 v2, s[2:3], v0, v2
	v_addc_co_u32_e64 v3, s[2:3], v1, v3, s[2:3]
	global_store_dword v[2:3], v7, off offset:4 glc slc
.LBB3_111:
	s_or_b64 exec, exec, s[4:5]
	s_and_saveexec_b64 s[2:3], s[0:1]
	s_cbranch_execz .LBB3_117
; %bb.112:
	s_and_saveexec_b64 s[4:5], vcc
	s_cbranch_execnz .LBB3_134
; %bb.113:
	s_or_b64 exec, exec, s[4:5]
	s_and_saveexec_b64 s[4:5], s[10:11]
	s_cbranch_execnz .LBB3_135
.LBB3_114:
	s_or_b64 exec, exec, s[4:5]
	s_and_saveexec_b64 s[4:5], s[8:9]
	s_cbranch_execnz .LBB3_136
.LBB3_115:
	s_or_b64 exec, exec, s[4:5]
	s_and_b64 exec, exec, s[6:7]
	s_cbranch_execz .LBB3_117
.LBB3_116:
	v_ashrrev_i32_e32 v25, 31, v24
	v_lshlrev_b64 v[2:3], 2, v[24:25]
	v_add_co_u32_e64 v0, s[0:1], v0, v2
	v_addc_co_u32_e64 v1, s[0:1], v1, v3, s[0:1]
	global_store_dword v[0:1], v8, off offset:8 glc slc
.LBB3_117:
	s_or_b64 exec, exec, s[2:3]
                                        ; implicit-def: $vgpr24
                                        ; implicit-def: $vgpr18
                                        ; implicit-def: $vgpr20
                                        ; implicit-def: $vgpr1
                                        ; implicit-def: $vgpr0
                                        ; implicit-def: $vgpr2_vgpr3_vgpr4_vgpr5
                                        ; implicit-def: $vgpr14_vgpr15_vgpr16_vgpr17
                                        ; implicit-def: $vgpr10_vgpr11_vgpr12_vgpr13
                                        ; implicit-def: $vgpr6_vgpr7_vgpr8_vgpr9
.LBB3_118:
	s_andn2_saveexec_b64 s[0:1], s[14:15]
	s_cbranch_execz .LBB3_124
; %bb.119:
	s_and_saveexec_b64 s[0:1], vcc
	s_cbranch_execnz .LBB3_125
; %bb.120:
	s_or_b64 exec, exec, s[0:1]
	v_cmp_gt_i32_e32 vcc, s17, v20
	s_and_saveexec_b64 s[0:1], vcc
	s_cbranch_execnz .LBB3_126
.LBB3_121:
	s_or_b64 exec, exec, s[0:1]
	v_cmp_gt_i32_e32 vcc, s17, v1
	s_and_saveexec_b64 s[0:1], vcc
	s_cbranch_execnz .LBB3_127
.LBB3_122:
	s_or_b64 exec, exec, s[0:1]
	v_cmp_gt_i32_e32 vcc, s17, v0
	s_and_saveexec_b64 s[0:1], vcc
	s_cbranch_execz .LBB3_124
.LBB3_123:
	v_mad_i64_i32 v[0:1], s[0:1], s16, v0, 0
	v_lshlrev_b64 v[0:1], 2, v[0:1]
	v_ashrrev_i32_e32 v25, 31, v24
	v_mov_b32_e32 v2, s21
	v_add_co_u32_e32 v3, vcc, s20, v0
	v_addc_co_u32_e32 v2, vcc, v2, v1, vcc
	v_lshlrev_b64 v[0:1], 2, v[24:25]
	v_add_co_u32_e32 v0, vcc, v3, v0
	v_addc_co_u32_e32 v1, vcc, v2, v1, vcc
	global_store_dwordx4 v[0:1], v[6:9], off
.LBB3_124:
	s_endpgm
.LBB3_125:
	v_mad_i64_i32 v[18:19], s[2:3], s16, v18, 0
	v_lshlrev_b64 v[18:19], 2, v[18:19]
	v_ashrrev_i32_e32 v25, 31, v24
	v_mov_b32_e32 v21, s21
	v_add_co_u32_e32 v22, vcc, s20, v18
	v_addc_co_u32_e32 v21, vcc, v21, v19, vcc
	v_lshlrev_b64 v[18:19], 2, v[24:25]
	v_add_co_u32_e32 v18, vcc, v22, v18
	v_addc_co_u32_e32 v19, vcc, v21, v19, vcc
	global_store_dwordx4 v[18:19], v[2:5], off
	s_or_b64 exec, exec, s[0:1]
	v_cmp_gt_i32_e32 vcc, s17, v20
	s_and_saveexec_b64 s[0:1], vcc
	s_cbranch_execz .LBB3_121
.LBB3_126:
	v_mad_i64_i32 v[2:3], s[2:3], s16, v20, 0
	v_lshlrev_b64 v[2:3], 2, v[2:3]
	v_ashrrev_i32_e32 v25, 31, v24
	v_mov_b32_e32 v4, s21
	v_add_co_u32_e32 v5, vcc, s20, v2
	v_addc_co_u32_e32 v4, vcc, v4, v3, vcc
	v_lshlrev_b64 v[2:3], 2, v[24:25]
	v_add_co_u32_e32 v2, vcc, v5, v2
	v_addc_co_u32_e32 v3, vcc, v4, v3, vcc
	global_store_dwordx4 v[2:3], v[14:17], off
	s_or_b64 exec, exec, s[0:1]
	v_cmp_gt_i32_e32 vcc, s17, v1
	s_and_saveexec_b64 s[0:1], vcc
	s_cbranch_execz .LBB3_122
.LBB3_127:
	v_mad_i64_i32 v[2:3], s[2:3], s16, v1, 0
	v_lshlrev_b64 v[2:3], 2, v[2:3]
	v_ashrrev_i32_e32 v25, 31, v24
	v_mov_b32_e32 v1, s21
	v_add_co_u32_e32 v4, vcc, s20, v2
	v_addc_co_u32_e32 v1, vcc, v1, v3, vcc
	v_lshlrev_b64 v[2:3], 2, v[24:25]
	v_add_co_u32_e32 v2, vcc, v4, v2
	v_addc_co_u32_e32 v3, vcc, v1, v3, vcc
	global_store_dwordx4 v[2:3], v[10:13], off
	s_or_b64 exec, exec, s[0:1]
	v_cmp_gt_i32_e32 vcc, s17, v0
	s_and_saveexec_b64 s[0:1], vcc
	s_cbranch_execnz .LBB3_123
	s_branch .LBB3_124
.LBB3_128:
	v_ashrrev_i32_e32 v25, 31, v24
	v_lshlrev_b64 v[20:21], 2, v[24:25]
	v_add_co_u32_e64 v20, s[4:5], v18, v20
	v_addc_co_u32_e64 v21, s[4:5], v19, v21, s[4:5]
	global_store_dword v[20:21], v2, off glc slc
	s_or_b64 exec, exec, s[12:13]
	s_and_saveexec_b64 s[12:13], s[10:11]
	s_cbranch_execz .LBB3_102
.LBB3_129:
	v_ashrrev_i32_e32 v25, 31, v24
	v_lshlrev_b64 v[20:21], 2, v[24:25]
	v_add_co_u32_e64 v20, s[4:5], v13, v20
	v_addc_co_u32_e64 v21, s[4:5], v17, v21, s[4:5]
	global_store_dword v[20:21], v14, off glc slc
	s_or_b64 exec, exec, s[12:13]
	s_and_saveexec_b64 s[12:13], s[8:9]
	s_cbranch_execz .LBB3_103
.LBB3_130:
	v_ashrrev_i32_e32 v25, 31, v24
	v_lshlrev_b64 v[20:21], 2, v[24:25]
	v_add_co_u32_e64 v20, s[4:5], v5, v20
	v_addc_co_u32_e64 v21, s[4:5], v9, v21, s[4:5]
	global_store_dword v[20:21], v10, off glc slc
	s_or_b64 exec, exec, s[12:13]
	s_and_b64 exec, exec, s[6:7]
	s_cbranch_execnz .LBB3_104
	s_branch .LBB3_105
.LBB3_131:
	v_ashrrev_i32_e32 v25, 31, v24
	v_lshlrev_b64 v[20:21], 2, v[24:25]
	v_add_co_u32_e64 v20, s[2:3], v18, v20
	v_addc_co_u32_e64 v21, s[2:3], v19, v21, s[2:3]
	global_store_dword v[20:21], v3, off offset:4 glc slc
	s_or_b64 exec, exec, s[12:13]
	s_and_saveexec_b64 s[12:13], s[10:11]
	s_cbranch_execz .LBB3_108
.LBB3_132:
	v_ashrrev_i32_e32 v25, 31, v24
	v_lshlrev_b64 v[2:3], 2, v[24:25]
	v_add_co_u32_e64 v2, s[2:3], v13, v2
	v_addc_co_u32_e64 v3, s[2:3], v17, v3, s[2:3]
	global_store_dword v[2:3], v15, off offset:4 glc slc
	s_or_b64 exec, exec, s[12:13]
	s_and_saveexec_b64 s[12:13], s[8:9]
	s_cbranch_execz .LBB3_109
.LBB3_133:
	v_ashrrev_i32_e32 v25, 31, v24
	v_lshlrev_b64 v[2:3], 2, v[24:25]
	v_add_co_u32_e64 v2, s[2:3], v5, v2
	v_addc_co_u32_e64 v3, s[2:3], v9, v3, s[2:3]
	global_store_dword v[2:3], v11, off offset:4 glc slc
	s_or_b64 exec, exec, s[12:13]
	s_and_b64 exec, exec, s[6:7]
	s_cbranch_execnz .LBB3_110
	s_branch .LBB3_111
.LBB3_134:
	v_ashrrev_i32_e32 v25, 31, v24
	v_lshlrev_b64 v[2:3], 2, v[24:25]
	v_add_co_u32_e64 v2, s[0:1], v18, v2
	v_addc_co_u32_e64 v3, s[0:1], v19, v3, s[0:1]
	global_store_dword v[2:3], v4, off offset:8 glc slc
	s_or_b64 exec, exec, s[4:5]
	s_and_saveexec_b64 s[4:5], s[10:11]
	s_cbranch_execz .LBB3_114
.LBB3_135:
	v_ashrrev_i32_e32 v25, 31, v24
	v_lshlrev_b64 v[2:3], 2, v[24:25]
	v_add_co_u32_e64 v2, s[0:1], v13, v2
	v_addc_co_u32_e64 v3, s[0:1], v17, v3, s[0:1]
	global_store_dword v[2:3], v16, off offset:8 glc slc
	s_or_b64 exec, exec, s[4:5]
	s_and_saveexec_b64 s[4:5], s[8:9]
	s_cbranch_execz .LBB3_115
.LBB3_136:
	v_ashrrev_i32_e32 v25, 31, v24
	v_lshlrev_b64 v[2:3], 2, v[24:25]
	v_add_co_u32_e64 v2, s[0:1], v5, v2
	v_addc_co_u32_e64 v3, s[0:1], v9, v3, s[0:1]
	global_store_dword v[2:3], v12, off offset:8 glc slc
	s_or_b64 exec, exec, s[4:5]
	s_and_b64 exec, exec, s[6:7]
	s_cbranch_execnz .LBB3_116
	s_branch .LBB3_117
	.section	.rodata,"a",@progbits
	.p2align	6, 0x0
	.amdhsa_kernel _Z22gemm_bf16_f32_mfma_qkvPK14__hip_bfloat16PKfPfS1_iii
		.amdhsa_group_segment_fixed_size 17408
		.amdhsa_private_segment_fixed_size 0
		.amdhsa_kernarg_size 44
		.amdhsa_user_sgpr_count 6
		.amdhsa_user_sgpr_private_segment_buffer 1
		.amdhsa_user_sgpr_dispatch_ptr 0
		.amdhsa_user_sgpr_queue_ptr 0
		.amdhsa_user_sgpr_kernarg_segment_ptr 1
		.amdhsa_user_sgpr_dispatch_id 0
		.amdhsa_user_sgpr_flat_scratch_init 0
		.amdhsa_user_sgpr_kernarg_preload_length 0
		.amdhsa_user_sgpr_kernarg_preload_offset 0
		.amdhsa_user_sgpr_private_segment_size 0
		.amdhsa_uses_dynamic_stack 0
		.amdhsa_system_sgpr_private_segment_wavefront_offset 0
		.amdhsa_system_sgpr_workgroup_id_x 1
		.amdhsa_system_sgpr_workgroup_id_y 1
		.amdhsa_system_sgpr_workgroup_id_z 0
		.amdhsa_system_sgpr_workgroup_info 0
		.amdhsa_system_vgpr_workitem_id 0
		.amdhsa_next_free_vgpr 56
		.amdhsa_next_free_sgpr 35
		.amdhsa_accum_offset 56
		.amdhsa_reserve_vcc 1
		.amdhsa_reserve_flat_scratch 0
		.amdhsa_float_round_mode_32 0
		.amdhsa_float_round_mode_16_64 0
		.amdhsa_float_denorm_mode_32 3
		.amdhsa_float_denorm_mode_16_64 3
		.amdhsa_dx10_clamp 1
		.amdhsa_ieee_mode 1
		.amdhsa_fp16_overflow 0
		.amdhsa_tg_split 0
		.amdhsa_exception_fp_ieee_invalid_op 0
		.amdhsa_exception_fp_denorm_src 0
		.amdhsa_exception_fp_ieee_div_zero 0
		.amdhsa_exception_fp_ieee_overflow 0
		.amdhsa_exception_fp_ieee_underflow 0
		.amdhsa_exception_fp_ieee_inexact 0
		.amdhsa_exception_int_div_zero 0
	.end_amdhsa_kernel
	.text
.Lfunc_end3:
	.size	_Z22gemm_bf16_f32_mfma_qkvPK14__hip_bfloat16PKfPfS1_iii, .Lfunc_end3-_Z22gemm_bf16_f32_mfma_qkvPK14__hip_bfloat16PKfPfS1_iii
                                        ; -- End function
	.section	.AMDGPU.csdata,"",@progbits
; Kernel info:
; codeLenInByte = 3992
; NumSgprs: 39
; NumVgprs: 56
; NumAgprs: 0
; TotalNumVgprs: 56
; ScratchSize: 0
; MemoryBound: 0
; FloatMode: 240
; IeeeMode: 1
; LDSByteSize: 17408 bytes/workgroup (compile time only)
; SGPRBlocks: 4
; VGPRBlocks: 6
; NumSGPRsForWavesPerEU: 39
; NumVGPRsForWavesPerEU: 56
; AccumOffset: 56
; Occupancy: 8
; WaveLimiterHint : 0
; COMPUTE_PGM_RSRC2:SCRATCH_EN: 0
; COMPUTE_PGM_RSRC2:USER_SGPR: 6
; COMPUTE_PGM_RSRC2:TRAP_HANDLER: 0
; COMPUTE_PGM_RSRC2:TGID_X_EN: 1
; COMPUTE_PGM_RSRC2:TGID_Y_EN: 1
; COMPUTE_PGM_RSRC2:TGID_Z_EN: 0
; COMPUTE_PGM_RSRC2:TIDIG_COMP_CNT: 0
; COMPUTE_PGM_RSRC3_GFX90A:ACCUM_OFFSET: 13
; COMPUTE_PGM_RSRC3_GFX90A:TG_SPLIT: 0
	.text
	.protected	_Z25gemm_bf16_f32_mfma_routerPK14__hip_bfloat16PKfPfS1_iii ; -- Begin function _Z25gemm_bf16_f32_mfma_routerPK14__hip_bfloat16PKfPfS1_iii
	.globl	_Z25gemm_bf16_f32_mfma_routerPK14__hip_bfloat16PKfPfS1_iii
	.p2align	8
	.type	_Z25gemm_bf16_f32_mfma_routerPK14__hip_bfloat16PKfPfS1_iii,@function
_Z25gemm_bf16_f32_mfma_routerPK14__hip_bfloat16PKfPfS1_iii: ; @_Z25gemm_bf16_f32_mfma_routerPK14__hip_bfloat16PKfPfS1_iii
; %bb.0:
	s_load_dwordx2 s[8:9], s[4:5], 0x18
	s_load_dwordx4 s[16:19], s[4:5], 0x20
	v_lshrrev_b32_e32 v2, 2, v0
	s_lshl_b32 s28, s7, 8
	v_and_b32_e32 v1, 0xf0, v2
	s_mov_b32 s0, 0
	v_or_b32_e32 v10, s28, v1
	v_and_b32_e32 v38, 12, v2
	s_mov_b32 s2, s0
	s_mov_b32 s3, s0
	v_or_b32_e32 v24, v10, v38
	s_mov_b32 s1, s0
	v_pk_mov_b32 v[4:5], s[2:3], s[2:3] op_sel:[0,1]
	s_waitcnt lgkmcnt(0)
	v_cmp_gt_i32_e64 s[12:13], s16, v24
	v_pk_mov_b32 v[2:3], s[0:1], s[0:1] op_sel:[0,1]
	s_and_saveexec_b64 s[0:1], s[12:13]
	s_cbranch_execz .LBB4_2
; %bb.1:
	v_ashrrev_i32_e32 v25, 31, v24
	v_lshlrev_b64 v[2:3], 1, v[24:25]
	v_mov_b32_e32 v4, s9
	v_add_co_u32_e32 v2, vcc, s8, v2
	v_addc_co_u32_e32 v3, vcc, v4, v3, vcc
	global_load_ushort v2, v[2:3], off
	v_mov_b32_e32 v3, 0
	v_mov_b32_e32 v4, v3
	;; [unrolled: 1-line block ×3, first 2 shown]
	s_waitcnt vmcnt(0)
	v_lshlrev_b32_e32 v2, 16, v2
.LBB4_2:
	s_or_b64 exec, exec, s[0:1]
	v_or_b32_e32 v6, 1, v24
	v_cmp_gt_i32_e64 s[2:3], s16, v6
	s_and_saveexec_b64 s[0:1], s[2:3]
	s_cbranch_execz .LBB4_4
; %bb.3:
	v_ashrrev_i32_e32 v25, 31, v24
	v_lshlrev_b64 v[6:7], 1, v[24:25]
	v_mov_b32_e32 v3, s9
	v_add_co_u32_e32 v6, vcc, s8, v6
	v_addc_co_u32_e32 v7, vcc, v3, v7, vcc
	global_load_ushort v3, v[6:7], off offset:2
	s_waitcnt vmcnt(0)
	v_lshlrev_b32_e32 v3, 16, v3
.LBB4_4:
	s_or_b64 exec, exec, s[0:1]
	v_or_b32_e32 v6, 2, v24
	v_cmp_gt_i32_e64 s[0:1], s16, v6
	s_and_saveexec_b64 s[10:11], s[0:1]
	s_cbranch_execz .LBB4_6
; %bb.5:
	v_ashrrev_i32_e32 v25, 31, v24
	v_lshlrev_b64 v[6:7], 1, v[24:25]
	v_mov_b32_e32 v4, s9
	v_add_co_u32_e32 v6, vcc, s8, v6
	v_addc_co_u32_e32 v7, vcc, v4, v7, vcc
	global_load_ushort v4, v[6:7], off offset:4
	s_waitcnt vmcnt(0)
	v_lshlrev_b32_e32 v4, 16, v4
.LBB4_6:
	s_or_b64 exec, exec, s[10:11]
	s_load_dwordx2 s[10:11], s[4:5], 0x8
	v_or_b32_e32 v6, 3, v24
	v_cmp_le_i32_e64 s[14:15], s16, v6
	v_cmp_gt_i32_e32 vcc, s16, v6
	s_and_saveexec_b64 s[20:21], vcc
	s_cbranch_execz .LBB4_8
; %bb.7:
	v_ashrrev_i32_e32 v25, 31, v24
	v_lshlrev_b64 v[6:7], 1, v[24:25]
	v_mov_b32_e32 v5, s9
	v_add_co_u32_e32 v6, vcc, s8, v6
	v_addc_co_u32_e32 v7, vcc, v5, v7, vcc
	global_load_ushort v5, v[6:7], off offset:6
	s_waitcnt vmcnt(0)
	v_lshlrev_b32_e32 v5, 16, v5
.LBB4_8:
	s_or_b64 exec, exec, s[20:21]
	s_load_dwordx2 s[22:23], s[4:5], 0x0
	s_load_dwordx2 s[20:21], s[4:5], 0x10
	s_lshl_b32 s19, s6, 6
	v_lshrrev_b32_e32 v15, 4, v0
	v_lshlrev_b32_e32 v6, 2, v0
	v_and_b32_e32 v11, 60, v6
	v_or_b32_e32 v13, s19, v15
	v_cmp_gt_i32_e64 s[8:9], s17, v13
	v_cmp_gt_i32_e32 vcc, s18, v11
	s_and_b64 s[4:5], s[8:9], vcc
	v_mov_b32_e32 v7, 0
	v_ashrrev_i32_e32 v14, 31, v13
	v_lshlrev_b32_e32 v12, 2, v11
	v_mov_b32_e32 v6, 0
	s_and_saveexec_b64 s[6:7], s[4:5]
	s_xor_b64 s[4:5], exec, s[6:7]
	s_cbranch_execz .LBB4_26
; %bb.9:
	v_mad_u64_u32 v[6:7], s[6:7], s18, v13, 0
	v_mov_b32_e32 v8, v7
	v_mad_u64_u32 v[8:9], s[6:7], s18, v14, v[8:9]
	v_mov_b32_e32 v7, v8
	v_lshlrev_b64 v[6:7], 2, v[6:7]
	s_waitcnt lgkmcnt(0)
	v_mov_b32_e32 v8, s11
	v_add_co_u32_e32 v6, vcc, s10, v6
	v_addc_co_u32_e32 v7, vcc, v8, v7, vcc
	v_add_co_u32_e32 v6, vcc, v6, v12
	v_addc_co_u32_e32 v7, vcc, 0, v7, vcc
	global_load_dwordx4 v[6:9], v[6:7], off
	s_mov_b32 s6, 0x7f800000
	s_waitcnt vmcnt(0)
	v_and_b32_e32 v16, 0x7f800000, v6
	v_cmp_ne_u32_e32 vcc, s6, v16
                                        ; implicit-def: $vgpr16
	s_and_saveexec_b64 s[6:7], vcc
	s_xor_b64 s[6:7], exec, s[6:7]
; %bb.10:
	v_bfe_u32 v16, v6, 16, 1
	s_movk_i32 s24, 0x7fff
	v_add3_u32 v16, v6, v16, s24
; %bb.11:
	s_andn2_saveexec_b64 s[6:7], s[6:7]
; %bb.12:
	v_mov_b32_e32 v16, 0
	v_or_b32_e32 v17, 0x10000, v6
	v_cmp_eq_u32_sdwa vcc, v6, v16 src0_sel:WORD_0 src1_sel:DWORD
	v_cndmask_b32_e32 v16, v17, v6, vcc
; %bb.13:
	s_or_b64 exec, exec, s[6:7]
	s_mov_b32 s6, 0x7f800000
	v_and_b32_e32 v6, 0x7f800000, v7
	v_cmp_ne_u32_e32 vcc, s6, v6
                                        ; implicit-def: $vgpr17
	s_and_saveexec_b64 s[6:7], vcc
	s_xor_b64 s[6:7], exec, s[6:7]
; %bb.14:
	v_bfe_u32 v6, v7, 16, 1
	s_movk_i32 s24, 0x7fff
	v_add3_u32 v17, v7, v6, s24
; %bb.15:
	s_andn2_saveexec_b64 s[6:7], s[6:7]
; %bb.16:
	v_mov_b32_e32 v6, 0
	v_or_b32_e32 v17, 0x10000, v7
	v_cmp_eq_u32_sdwa vcc, v7, v6 src0_sel:WORD_0 src1_sel:DWORD
	v_cndmask_b32_e32 v17, v17, v7, vcc
; %bb.17:
	s_or_b64 exec, exec, s[6:7]
	s_mov_b32 s6, 0x7f800000
	v_and_b32_e32 v6, 0x7f800000, v8
	v_cmp_ne_u32_e32 vcc, s6, v6
                                        ; implicit-def: $vgpr18
	s_and_saveexec_b64 s[6:7], vcc
	s_xor_b64 s[6:7], exec, s[6:7]
; %bb.18:
	v_bfe_u32 v6, v8, 16, 1
	s_movk_i32 s24, 0x7fff
	v_add3_u32 v18, v8, v6, s24
; %bb.19:
	s_andn2_saveexec_b64 s[6:7], s[6:7]
; %bb.20:
	v_mov_b32_e32 v6, 0
	v_or_b32_e32 v7, 0x10000, v8
	v_cmp_eq_u32_sdwa vcc, v8, v6 src0_sel:WORD_0 src1_sel:DWORD
	v_cndmask_b32_e32 v18, v7, v8, vcc
; %bb.21:
	s_or_b64 exec, exec, s[6:7]
	s_mov_b32 s6, 0x7f800000
	v_and_b32_e32 v6, 0x7f800000, v9
	v_cmp_ne_u32_e32 vcc, s6, v6
                                        ; implicit-def: $vgpr19
	s_and_saveexec_b64 s[6:7], vcc
	s_xor_b64 s[6:7], exec, s[6:7]
; %bb.22:
	v_bfe_u32 v6, v9, 16, 1
	s_movk_i32 s24, 0x7fff
	v_add3_u32 v19, v9, v6, s24
                                        ; implicit-def: $vgpr6_vgpr7_vgpr8_vgpr9
; %bb.23:
	s_andn2_saveexec_b64 s[6:7], s[6:7]
; %bb.24:
	v_mov_b32_e32 v6, 0
	v_or_b32_e32 v7, 0x10000, v9
	v_cmp_eq_u32_sdwa vcc, v9, v6 src0_sel:WORD_0 src1_sel:DWORD
	v_cndmask_b32_e32 v19, v7, v9, vcc
; %bb.25:
	s_or_b64 exec, exec, s[6:7]
	s_mov_b32 s6, 0x7060302
	v_perm_b32 v6, v17, v16, s6
	v_perm_b32 v7, v19, v18, s6
.LBB4_26:
	s_or_b64 exec, exec, s[4:5]
	s_movk_i32 s4, 0x44
	v_mad_u32_u24 v39, v15, s4, v11
	v_and_b32_e32 v25, 15, v0
	s_mov_b32 s24, 1
	v_lshlrev_b32_e32 v8, 1, v39
	s_cmp_lt_i32 s18, 1
	ds_write_b64 v8, v[6:7]
	s_waitcnt lgkmcnt(0)
	s_barrier
	s_cbranch_scc1 .LBB4_97
; %bb.27:
	s_add_i32 s4, s18, 63
	s_ashr_i32 s5, s4, 31
	s_lshr_b32 s5, s5, 26
	s_add_i32 s4, s4, s5
	s_ashr_i32 s25, s4, 6
	v_mad_u64_u32 v[6:7], s[4:5], s18, v13, 0
	v_mov_b32_e32 v8, v7
	v_mad_u64_u32 v[8:9], s[4:5], s18, v14, v[8:9]
	v_mov_b32_e32 v7, v8
	v_lshlrev_b64 v[6:7], 2, v[6:7]
	v_mov_b32_e32 v8, s11
	v_add_co_u32_e32 v6, vcc, s10, v6
	v_addc_co_u32_e32 v7, vcc, v8, v7, vcc
	v_add_co_u32_e32 v6, vcc, v6, v12
	v_addc_co_u32_e32 v7, vcc, 0, v7, vcc
	s_movk_i32 s5, 0x100
	s_max_i32 s4, s25, 1
	v_add_co_u32_e32 v26, vcc, s5, v6
	v_add3_u32 v1, s28, v1, v25
	v_or_b32_e32 v8, v10, v25
	v_addc_co_u32_e32 v27, vcc, 0, v7, vcc
	s_lshl_b32 s27, s4, 6
	v_mad_u64_u32 v[6:7], s[4:5], v1, s18, 0
	v_cmp_gt_i32_e64 s[10:11], s16, v8
	v_ashrrev_i32_e32 v9, 31, v1
	v_mov_b32_e32 v8, v7
	v_mad_u64_u32 v[8:9], s[4:5], v9, s18, v[8:9]
	v_mov_b32_e32 v7, v8
	v_lshrrev_b32_e32 v0, 1, v0
	v_lshlrev_b64 v[6:7], 1, v[6:7]
	v_and_b32_e32 v0, 24, v0
	v_add_co_u32_e32 v0, vcc, v6, v0
	v_addc_co_u32_e32 v1, vcc, 0, v7, vcc
	v_mov_b32_e32 v6, s23
	v_add_co_u32_e32 v0, vcc, s22, v0
	v_addc_co_u32_e32 v1, vcc, v1, v6, vcc
	s_movk_i32 s4, 0x64
	v_or_b32_e32 v41, 64, v11
	v_add_co_u32_e32 v28, vcc, s4, v0
	v_pk_mov_b32 v[16:17], v[4:5], v[4:5] op_sel:[0,1]
	v_pk_mov_b32 v[12:13], v[4:5], v[4:5] op_sel:[0,1]
	;; [unrolled: 1-line block ×3, first 2 shown]
	s_mov_b32 s26, 0
	v_mul_u32_u24_e32 v40, 0x88, v25
	v_addc_co_u32_e32 v29, vcc, 0, v1, vcc
	s_mov_b32 s28, 0x7f800000
	s_movk_i32 s29, 0x7fff
	s_mov_b32 s30, 0xffff
	s_mov_b32 s31, 0x7060302
	;; [unrolled: 1-line block ×3, first 2 shown]
	v_mov_b32_e32 v42, 0
	v_pk_mov_b32 v[14:15], v[2:3], v[2:3] op_sel:[0,1]
	v_pk_mov_b32 v[10:11], v[2:3], v[2:3] op_sel:[0,1]
	;; [unrolled: 1-line block ×3, first 2 shown]
	s_branch .LBB4_30
.LBB4_28:                               ;   in Loop: Header=BB4_30 Depth=1
	s_or_b64 exec, exec, s[6:7]
.LBB4_29:                               ;   in Loop: Header=BB4_30 Depth=1
	s_or_b64 exec, exec, s[4:5]
	ds_read2_b64 v[16:19], v43 offset0:8 offset1:12
	v_add_co_u32_e32 v26, vcc, 0x100, v26
	v_addc_co_u32_e32 v27, vcc, 0, v27, vcc
	s_waitcnt vmcnt(0) lgkmcnt(0)
	v_mfma_f32_16x16x16bf16_1k v[12:15], v[34:35], v[16:17], v[12:15]
	v_add_u32_e32 v16, 0x880, v43
	ds_read2_b64 v[20:23], v16 offset0:8 offset1:12
	v_add_u32_e32 v16, 0x1100, v43
	ds_read2_b64 v[44:47], v16 offset0:8 offset1:12
	s_add_i32 s26, s26, 64
	s_add_i32 s24, s24, 1
	v_add_co_u32_e32 v28, vcc, 0x80, v28
	s_waitcnt lgkmcnt(0)
	v_mfma_f32_16x16x16bf16_1k v[48:51], v[34:35], v[44:45], v[0:3]
	v_addc_co_u32_e32 v29, vcc, 0, v29, vcc
	s_cmp_eq_u32 s27, s26
	s_nop 4
	v_add_u32_e32 v0, 0x1980, v43
	ds_read2_b64 v[52:55], v0 offset0:8 offset1:12
	v_mfma_f32_16x16x16bf16_1k v[8:11], v[34:35], v[20:21], v[8:11]
	s_waitcnt lgkmcnt(0)
	s_barrier
	v_mfma_f32_16x16x16bf16_1k v[34:37], v[34:35], v[52:53], v[4:7]
	v_mfma_f32_16x16x16bf16_1k v[2:5], v[32:33], v[18:19], v[12:15]
	;; [unrolled: 1-line block ×5, first 2 shown]
	s_cbranch_scc1 .LBB4_98
.LBB4_30:                               ; =>This Inner Loop Header: Depth=1
	s_add_i32 s4, s24, -1
	s_and_b32 s34, s4, 1
	s_cmp_ge_i32 s24, s25
	s_cbranch_scc1 .LBB4_50
; %bb.31:                               ;   in Loop: Header=BB4_30 Depth=1
	v_add_u32_e32 v0, s26, v41
	v_cmp_gt_i32_e32 vcc, s18, v0
	s_and_b64 s[6:7], s[8:9], vcc
	v_mov_b32_e32 v1, 0
	v_mov_b32_e32 v0, 0
	s_and_saveexec_b64 s[4:5], s[6:7]
	s_cbranch_execz .LBB4_49
; %bb.32:                               ;   in Loop: Header=BB4_30 Depth=1
	global_load_dwordx4 v[18:21], v[26:27], off
	s_waitcnt vmcnt(0)
	v_and_b32_e32 v0, 0x7f800000, v18
	v_cmp_ne_u32_e32 vcc, s28, v0
                                        ; implicit-def: $vgpr0
	s_and_saveexec_b64 s[6:7], vcc
	s_xor_b64 s[6:7], exec, s[6:7]
; %bb.33:                               ;   in Loop: Header=BB4_30 Depth=1
	v_bfe_u32 v0, v18, 16, 1
	v_add3_u32 v0, v18, v0, s29
; %bb.34:                               ;   in Loop: Header=BB4_30 Depth=1
	s_andn2_saveexec_b64 s[6:7], s[6:7]
; %bb.35:                               ;   in Loop: Header=BB4_30 Depth=1
	v_or_b32_e32 v0, 0x10000, v18
	v_cmp_eq_u32_sdwa vcc, v18, v42 src0_sel:WORD_0 src1_sel:DWORD
	v_cndmask_b32_e32 v0, v0, v18, vcc
; %bb.36:                               ;   in Loop: Header=BB4_30 Depth=1
	s_or_b64 exec, exec, s[6:7]
	v_and_b32_e32 v1, 0x7f800000, v19
	v_cmp_ne_u32_e32 vcc, s28, v1
                                        ; implicit-def: $vgpr1
	s_and_saveexec_b64 s[6:7], vcc
	s_xor_b64 s[6:7], exec, s[6:7]
; %bb.37:                               ;   in Loop: Header=BB4_30 Depth=1
	v_bfe_u32 v1, v19, 16, 1
	v_add3_u32 v1, v19, v1, s29
; %bb.38:                               ;   in Loop: Header=BB4_30 Depth=1
	s_andn2_saveexec_b64 s[6:7], s[6:7]
; %bb.39:                               ;   in Loop: Header=BB4_30 Depth=1
	v_or_b32_e32 v1, 0x10000, v19
	v_cmp_eq_u32_sdwa vcc, v19, v42 src0_sel:WORD_0 src1_sel:DWORD
	v_cndmask_b32_e32 v1, v1, v19, vcc
; %bb.40:                               ;   in Loop: Header=BB4_30 Depth=1
	s_or_b64 exec, exec, s[6:7]
	v_and_b32_e32 v18, 0x7f800000, v20
	v_cmp_ne_u32_e32 vcc, s28, v18
                                        ; implicit-def: $vgpr22
	s_and_saveexec_b64 s[6:7], vcc
	s_xor_b64 s[6:7], exec, s[6:7]
; %bb.41:                               ;   in Loop: Header=BB4_30 Depth=1
	v_bfe_u32 v18, v20, 16, 1
	v_add3_u32 v22, v20, v18, s29
; %bb.42:                               ;   in Loop: Header=BB4_30 Depth=1
	s_andn2_saveexec_b64 s[6:7], s[6:7]
; %bb.43:                               ;   in Loop: Header=BB4_30 Depth=1
	v_or_b32_e32 v18, 0x10000, v20
	v_cmp_eq_u32_sdwa vcc, v20, v42 src0_sel:WORD_0 src1_sel:DWORD
	v_cndmask_b32_e32 v22, v18, v20, vcc
; %bb.44:                               ;   in Loop: Header=BB4_30 Depth=1
	s_or_b64 exec, exec, s[6:7]
	v_and_b32_e32 v18, 0x7f800000, v21
	v_cmp_ne_u32_e32 vcc, s28, v18
                                        ; implicit-def: $vgpr23
	s_and_saveexec_b64 s[6:7], vcc
	s_xor_b64 s[6:7], exec, s[6:7]
; %bb.45:                               ;   in Loop: Header=BB4_30 Depth=1
	v_bfe_u32 v18, v21, 16, 1
	v_add3_u32 v23, v21, v18, s29
                                        ; implicit-def: $vgpr18_vgpr19_vgpr20_vgpr21
; %bb.46:                               ;   in Loop: Header=BB4_30 Depth=1
	s_andn2_saveexec_b64 s[6:7], s[6:7]
; %bb.47:                               ;   in Loop: Header=BB4_30 Depth=1
	v_or_b32_e32 v18, 0x10000, v21
	v_cmp_eq_u32_sdwa vcc, v21, v42 src0_sel:WORD_0 src1_sel:DWORD
	v_cndmask_b32_e32 v23, v18, v21, vcc
; %bb.48:                               ;   in Loop: Header=BB4_30 Depth=1
	s_or_b64 exec, exec, s[6:7]
	v_perm_b32 v0, v1, v0, s31
	v_perm_b32 v1, v23, v22, s31
.LBB4_49:                               ;   in Loop: Header=BB4_30 Depth=1
	s_or_b64 exec, exec, s[4:5]
	s_xor_b32 s4, s34, 1
	s_mulk_i32 s4, 0x2200
	v_lshl_add_u32 v18, v39, 1, s4
	ds_write_b64 v18, v[0:1]
.LBB4_50:                               ;   in Loop: Header=BB4_30 Depth=1
	v_mov_b32_e32 v30, 0
	s_nop 0
	v_mov_b32_e32 v36, 0
	v_mov_b32_e32 v37, 0
	s_and_saveexec_b64 s[4:5], s[10:11]
	s_cbranch_execz .LBB4_62
; %bb.51:                               ;   in Loop: Header=BB4_30 Depth=1
	v_add_u32_e32 v0, s26, v38
	v_add_u32_e32 v1, 3, v0
	v_cmp_le_i32_e32 vcc, s18, v1
                                        ; implicit-def: $vgpr37
	s_and_saveexec_b64 s[6:7], vcc
	s_xor_b64 s[6:7], exec, s[6:7]
	s_cbranch_execz .LBB4_59
; %bb.52:                               ;   in Loop: Header=BB4_30 Depth=1
	v_cmp_gt_i32_e32 vcc, s18, v0
	v_mov_b32_e32 v37, 0
	v_mov_b32_e32 v36, 0
	s_and_saveexec_b64 s[22:23], vcc
	s_cbranch_execz .LBB4_54
; %bb.53:                               ;   in Loop: Header=BB4_30 Depth=1
	global_load_ushort v1, v[28:29], off offset:-100
	s_waitcnt vmcnt(0)
	v_and_b32_e32 v36, 0xffff, v1
.LBB4_54:                               ;   in Loop: Header=BB4_30 Depth=1
	s_or_b64 exec, exec, s[22:23]
	v_add_u32_e32 v1, 1, v0
	v_cmp_gt_i32_e32 vcc, s18, v1
	s_and_saveexec_b64 s[22:23], vcc
	s_cbranch_execz .LBB4_56
; %bb.55:                               ;   in Loop: Header=BB4_30 Depth=1
	global_load_ushort v1, v[28:29], off offset:-98
	s_waitcnt vmcnt(0)
	v_perm_b32 v36, v1, v36, s33
.LBB4_56:                               ;   in Loop: Header=BB4_30 Depth=1
	s_or_b64 exec, exec, s[22:23]
	v_add_u32_e32 v0, 2, v0
	v_cmp_gt_i32_e32 vcc, s18, v0
	s_and_saveexec_b64 s[22:23], vcc
	s_cbranch_execz .LBB4_58
; %bb.57:                               ;   in Loop: Header=BB4_30 Depth=1
	global_load_ushort v0, v[28:29], off offset:-96
	s_waitcnt vmcnt(0)
	v_bfi_b32 v37, s30, v0, v37
.LBB4_58:                               ;   in Loop: Header=BB4_30 Depth=1
	s_or_b64 exec, exec, s[22:23]
.LBB4_59:                               ;   in Loop: Header=BB4_30 Depth=1
	s_andn2_saveexec_b64 s[6:7], s[6:7]
	s_cbranch_execz .LBB4_61
; %bb.60:                               ;   in Loop: Header=BB4_30 Depth=1
	global_load_dwordx2 v[36:37], v[28:29], off offset:-100
.LBB4_61:                               ;   in Loop: Header=BB4_30 Depth=1
	s_or_b64 exec, exec, s[6:7]
.LBB4_62:                               ;   in Loop: Header=BB4_30 Depth=1
	s_or_b64 exec, exec, s[4:5]
	v_mov_b32_e32 v31, 0
	s_and_saveexec_b64 s[4:5], s[10:11]
	s_cbranch_execz .LBB4_74
; %bb.63:                               ;   in Loop: Header=BB4_30 Depth=1
	v_add_u32_e32 v0, s26, v38
	v_add_u32_e32 v1, 19, v0
	v_cmp_le_i32_e32 vcc, s18, v1
                                        ; implicit-def: $vgpr31
	s_and_saveexec_b64 s[6:7], vcc
	s_xor_b64 s[6:7], exec, s[6:7]
	s_cbranch_execz .LBB4_71
; %bb.64:                               ;   in Loop: Header=BB4_30 Depth=1
	v_add_u32_e32 v1, 16, v0
	v_cmp_gt_i32_e32 vcc, s18, v1
	v_mov_b32_e32 v31, 0
	v_mov_b32_e32 v30, 0
	s_and_saveexec_b64 s[22:23], vcc
	s_cbranch_execz .LBB4_66
; %bb.65:                               ;   in Loop: Header=BB4_30 Depth=1
	global_load_ushort v1, v[28:29], off offset:-68
	s_waitcnt vmcnt(0)
	v_and_b32_e32 v30, 0xffff, v1
.LBB4_66:                               ;   in Loop: Header=BB4_30 Depth=1
	s_or_b64 exec, exec, s[22:23]
	v_add_u32_e32 v1, 17, v0
	v_cmp_gt_i32_e32 vcc, s18, v1
	s_and_saveexec_b64 s[22:23], vcc
	s_cbranch_execz .LBB4_68
; %bb.67:                               ;   in Loop: Header=BB4_30 Depth=1
	global_load_ushort v1, v[28:29], off offset:-66
	s_waitcnt vmcnt(0)
	v_perm_b32 v30, v1, v30, s33
.LBB4_68:                               ;   in Loop: Header=BB4_30 Depth=1
	s_or_b64 exec, exec, s[22:23]
	v_add_u32_e32 v0, 18, v0
	v_cmp_gt_i32_e32 vcc, s18, v0
	s_and_saveexec_b64 s[22:23], vcc
	s_cbranch_execz .LBB4_70
; %bb.69:                               ;   in Loop: Header=BB4_30 Depth=1
	global_load_ushort v0, v[28:29], off offset:-64
	s_waitcnt vmcnt(0)
	v_bfi_b32 v31, s30, v0, v31
.LBB4_70:                               ;   in Loop: Header=BB4_30 Depth=1
	s_or_b64 exec, exec, s[22:23]
.LBB4_71:                               ;   in Loop: Header=BB4_30 Depth=1
	s_andn2_saveexec_b64 s[6:7], s[6:7]
	s_cbranch_execz .LBB4_73
; %bb.72:                               ;   in Loop: Header=BB4_30 Depth=1
	global_load_dwordx2 v[30:31], v[28:29], off offset:-68
.LBB4_73:                               ;   in Loop: Header=BB4_30 Depth=1
	s_or_b64 exec, exec, s[6:7]
.LBB4_74:                               ;   in Loop: Header=BB4_30 Depth=1
	s_or_b64 exec, exec, s[4:5]
	s_mulk_i32 s34, 0x2200
	v_add_u32_e32 v0, s34, v40
	v_lshl_add_u32 v43, v38, 1, v0
	ds_read_b64 v[0:1], v43
	ds_read_b64 v[18:19], v43 offset:2176
	ds_read_b64 v[20:21], v43 offset:4352
	;; [unrolled: 1-line block ×3, first 2 shown]
	v_mov_b32_e32 v32, 0
	s_waitcnt vmcnt(0) lgkmcnt(3)
	v_mfma_f32_16x16x16bf16_1k v[0:3], v[36:37], v[0:1], v[2:5]
	v_mov_b32_e32 v34, 0
	v_mov_b32_e32 v35, 0
	s_waitcnt lgkmcnt(2)
	v_mfma_f32_16x16x16bf16_1k v[16:19], v[36:37], v[18:19], v[14:17]
	s_waitcnt lgkmcnt(1)
	v_mfma_f32_16x16x16bf16_1k v[20:23], v[36:37], v[20:21], v[10:13]
	;; [unrolled: 2-line block ×3, first 2 shown]
	s_and_saveexec_b64 s[4:5], s[10:11]
	s_cbranch_execz .LBB4_86
; %bb.75:                               ;   in Loop: Header=BB4_30 Depth=1
	s_nop 4
	v_add_u32_e32 v8, s26, v38
	v_add_u32_e32 v9, 35, v8
	v_cmp_le_i32_e32 vcc, s18, v9
                                        ; implicit-def: $vgpr35
	s_and_saveexec_b64 s[6:7], vcc
	s_xor_b64 s[6:7], exec, s[6:7]
	s_cbranch_execz .LBB4_83
; %bb.76:                               ;   in Loop: Header=BB4_30 Depth=1
	v_add_u32_e32 v9, 32, v8
	v_cmp_gt_i32_e32 vcc, s18, v9
	v_mov_b32_e32 v35, 0
	v_mov_b32_e32 v34, 0
	s_and_saveexec_b64 s[22:23], vcc
	s_cbranch_execz .LBB4_78
; %bb.77:                               ;   in Loop: Header=BB4_30 Depth=1
	global_load_ushort v9, v[28:29], off offset:-36
	s_waitcnt vmcnt(0)
	v_and_b32_e32 v34, 0xffff, v9
.LBB4_78:                               ;   in Loop: Header=BB4_30 Depth=1
	s_or_b64 exec, exec, s[22:23]
	v_add_u32_e32 v9, 33, v8
	v_cmp_gt_i32_e32 vcc, s18, v9
	s_and_saveexec_b64 s[22:23], vcc
	s_cbranch_execz .LBB4_80
; %bb.79:                               ;   in Loop: Header=BB4_30 Depth=1
	global_load_ushort v9, v[28:29], off offset:-34
	s_waitcnt vmcnt(0)
	v_perm_b32 v34, v9, v34, s33
.LBB4_80:                               ;   in Loop: Header=BB4_30 Depth=1
	s_or_b64 exec, exec, s[22:23]
	v_add_u32_e32 v8, 34, v8
	v_cmp_gt_i32_e32 vcc, s18, v8
	s_and_saveexec_b64 s[22:23], vcc
	s_cbranch_execz .LBB4_82
; %bb.81:                               ;   in Loop: Header=BB4_30 Depth=1
	global_load_ushort v8, v[28:29], off offset:-32
	s_waitcnt vmcnt(0)
	v_bfi_b32 v35, s30, v8, v35
.LBB4_82:                               ;   in Loop: Header=BB4_30 Depth=1
	s_or_b64 exec, exec, s[22:23]
.LBB4_83:                               ;   in Loop: Header=BB4_30 Depth=1
	s_andn2_saveexec_b64 s[6:7], s[6:7]
	s_cbranch_execz .LBB4_85
; %bb.84:                               ;   in Loop: Header=BB4_30 Depth=1
	global_load_dwordx2 v[34:35], v[28:29], off offset:-36
.LBB4_85:                               ;   in Loop: Header=BB4_30 Depth=1
	s_or_b64 exec, exec, s[6:7]
.LBB4_86:                               ;   in Loop: Header=BB4_30 Depth=1
	s_or_b64 exec, exec, s[4:5]
	s_nop 3
	ds_read_b64 v[8:9], v43 offset:32
	ds_read_b64 v[10:11], v43 offset:2208
	;; [unrolled: 1-line block ×4, first 2 shown]
	v_mov_b32_e32 v33, 0
	s_waitcnt lgkmcnt(3)
	v_mfma_f32_16x16x16bf16_1k v[12:15], v[30:31], v[8:9], v[0:3]
	s_waitcnt lgkmcnt(2)
	v_mfma_f32_16x16x16bf16_1k v[8:11], v[30:31], v[10:11], v[16:19]
	;; [unrolled: 2-line block ×4, first 2 shown]
	s_and_saveexec_b64 s[4:5], s[10:11]
	s_cbranch_execz .LBB4_29
; %bb.87:                               ;   in Loop: Header=BB4_30 Depth=1
	s_nop 0
	v_add_u32_e32 v16, s26, v38
	v_add_u32_e32 v17, 51, v16
	v_cmp_le_i32_e32 vcc, s18, v17
                                        ; implicit-def: $vgpr33
	s_and_saveexec_b64 s[6:7], vcc
	s_xor_b64 s[6:7], exec, s[6:7]
	s_cbranch_execz .LBB4_95
; %bb.88:                               ;   in Loop: Header=BB4_30 Depth=1
	v_add_u32_e32 v17, 48, v16
	v_cmp_gt_i32_e32 vcc, s18, v17
	v_mov_b32_e32 v33, 0
	v_mov_b32_e32 v32, 0
	s_and_saveexec_b64 s[22:23], vcc
	s_cbranch_execz .LBB4_90
; %bb.89:                               ;   in Loop: Header=BB4_30 Depth=1
	global_load_ushort v17, v[28:29], off offset:-4
	s_waitcnt vmcnt(0)
	v_and_b32_e32 v32, 0xffff, v17
.LBB4_90:                               ;   in Loop: Header=BB4_30 Depth=1
	s_or_b64 exec, exec, s[22:23]
	v_add_u32_e32 v17, 49, v16
	v_cmp_gt_i32_e32 vcc, s18, v17
	s_and_saveexec_b64 s[22:23], vcc
	s_cbranch_execz .LBB4_92
; %bb.91:                               ;   in Loop: Header=BB4_30 Depth=1
	global_load_ushort v17, v[28:29], off offset:-2
	s_waitcnt vmcnt(0)
	v_perm_b32 v32, v17, v32, s33
.LBB4_92:                               ;   in Loop: Header=BB4_30 Depth=1
	s_or_b64 exec, exec, s[22:23]
	v_add_u32_e32 v16, 50, v16
	v_cmp_gt_i32_e32 vcc, s18, v16
	s_and_saveexec_b64 s[22:23], vcc
	s_cbranch_execz .LBB4_94
; %bb.93:                               ;   in Loop: Header=BB4_30 Depth=1
	global_load_ushort v16, v[28:29], off
	s_waitcnt vmcnt(0)
	v_bfi_b32 v33, s30, v16, v33
.LBB4_94:                               ;   in Loop: Header=BB4_30 Depth=1
	s_or_b64 exec, exec, s[22:23]
.LBB4_95:                               ;   in Loop: Header=BB4_30 Depth=1
	s_andn2_saveexec_b64 s[6:7], s[6:7]
	s_cbranch_execz .LBB4_28
; %bb.96:                               ;   in Loop: Header=BB4_30 Depth=1
	global_load_dwordx2 v[32:33], v[28:29], off offset:-4
	s_branch .LBB4_28
.LBB4_97:
	v_pk_mov_b32 v[16:17], v[4:5], v[4:5] op_sel:[0,1]
	v_pk_mov_b32 v[12:13], v[4:5], v[4:5] op_sel:[0,1]
	;; [unrolled: 1-line block ×6, first 2 shown]
.LBB4_98:
	v_or_b32_e32 v18, s19, v25
	v_or_b32_e32 v20, 16, v18
	;; [unrolled: 1-line block ×4, first 2 shown]
	v_cmp_gt_i32_e32 vcc, s17, v18
	s_and_saveexec_b64 s[4:5], s[14:15]
	s_xor_b64 s[14:15], exec, s[4:5]
	s_cbranch_execz .LBB4_118
; %bb.99:
	v_mad_i64_i32 v[18:19], s[4:5], s16, v18, 0
	v_lshlrev_b64 v[18:19], 2, v[18:19]
	v_mov_b32_e32 v22, s21
	v_add_co_u32_e64 v18, s[4:5], s20, v18
	v_addc_co_u32_e64 v19, s[4:5], v22, v19, s[4:5]
	v_cmp_gt_i32_e64 s[10:11], s17, v20
	v_mad_i64_i32 v[20:21], s[4:5], s16, v20, 0
	v_lshlrev_b64 v[20:21], 2, v[20:21]
	v_add_co_u32_e64 v13, s[4:5], s20, v20
	v_addc_co_u32_e64 v17, s[4:5], v22, v21, s[4:5]
	v_mad_i64_i32 v[20:21], s[4:5], s16, v1, 0
	v_lshlrev_b64 v[20:21], 2, v[20:21]
	v_add_co_u32_e64 v5, s[4:5], s20, v20
	v_cmp_gt_i32_e64 s[8:9], s17, v1
	v_addc_co_u32_e64 v9, s[4:5], v22, v21, s[4:5]
	v_cmp_gt_i32_e64 s[6:7], s17, v0
	v_mad_i64_i32 v[0:1], s[4:5], s16, v0, 0
	v_lshlrev_b64 v[0:1], 2, v[0:1]
	v_add_co_u32_e64 v0, s[4:5], s20, v0
	v_addc_co_u32_e64 v1, s[4:5], v22, v1, s[4:5]
	s_and_saveexec_b64 s[18:19], s[12:13]
	s_cbranch_execz .LBB4_105
; %bb.100:
	s_and_saveexec_b64 s[12:13], vcc
	s_cbranch_execnz .LBB4_128
; %bb.101:
	s_or_b64 exec, exec, s[12:13]
	s_and_saveexec_b64 s[12:13], s[10:11]
	s_cbranch_execnz .LBB4_129
.LBB4_102:
	s_or_b64 exec, exec, s[12:13]
	s_and_saveexec_b64 s[12:13], s[8:9]
	s_cbranch_execnz .LBB4_130
.LBB4_103:
	s_or_b64 exec, exec, s[12:13]
	s_and_b64 exec, exec, s[6:7]
	s_cbranch_execz .LBB4_105
.LBB4_104:
	v_ashrrev_i32_e32 v25, 31, v24
	v_lshlrev_b64 v[20:21], 2, v[24:25]
	v_add_co_u32_e64 v20, s[4:5], v0, v20
	v_addc_co_u32_e64 v21, s[4:5], v1, v21, s[4:5]
	global_store_dword v[20:21], v6, off glc slc
.LBB4_105:
	s_or_b64 exec, exec, s[18:19]
	s_and_saveexec_b64 s[4:5], s[2:3]
	s_cbranch_execz .LBB4_111
; %bb.106:
	s_and_saveexec_b64 s[12:13], vcc
	s_cbranch_execnz .LBB4_131
; %bb.107:
	s_or_b64 exec, exec, s[12:13]
	s_and_saveexec_b64 s[12:13], s[10:11]
	s_cbranch_execnz .LBB4_132
.LBB4_108:
	s_or_b64 exec, exec, s[12:13]
	s_and_saveexec_b64 s[12:13], s[8:9]
	s_cbranch_execnz .LBB4_133
.LBB4_109:
	s_or_b64 exec, exec, s[12:13]
	s_and_b64 exec, exec, s[6:7]
	s_cbranch_execz .LBB4_111
.LBB4_110:
	v_ashrrev_i32_e32 v25, 31, v24
	v_lshlrev_b64 v[2:3], 2, v[24:25]
	v_add_co_u32_e64 v2, s[2:3], v0, v2
	v_addc_co_u32_e64 v3, s[2:3], v1, v3, s[2:3]
	global_store_dword v[2:3], v7, off offset:4 glc slc
.LBB4_111:
	s_or_b64 exec, exec, s[4:5]
	s_and_saveexec_b64 s[2:3], s[0:1]
	s_cbranch_execz .LBB4_117
; %bb.112:
	s_and_saveexec_b64 s[4:5], vcc
	s_cbranch_execnz .LBB4_134
; %bb.113:
	s_or_b64 exec, exec, s[4:5]
	s_and_saveexec_b64 s[4:5], s[10:11]
	s_cbranch_execnz .LBB4_135
.LBB4_114:
	s_or_b64 exec, exec, s[4:5]
	s_and_saveexec_b64 s[4:5], s[8:9]
	s_cbranch_execnz .LBB4_136
.LBB4_115:
	s_or_b64 exec, exec, s[4:5]
	s_and_b64 exec, exec, s[6:7]
	s_cbranch_execz .LBB4_117
.LBB4_116:
	v_ashrrev_i32_e32 v25, 31, v24
	v_lshlrev_b64 v[2:3], 2, v[24:25]
	v_add_co_u32_e64 v0, s[0:1], v0, v2
	v_addc_co_u32_e64 v1, s[0:1], v1, v3, s[0:1]
	global_store_dword v[0:1], v8, off offset:8 glc slc
.LBB4_117:
	s_or_b64 exec, exec, s[2:3]
                                        ; implicit-def: $vgpr24
                                        ; implicit-def: $vgpr18
                                        ; implicit-def: $vgpr20
                                        ; implicit-def: $vgpr1
                                        ; implicit-def: $vgpr0
                                        ; implicit-def: $vgpr2_vgpr3_vgpr4_vgpr5
                                        ; implicit-def: $vgpr14_vgpr15_vgpr16_vgpr17
                                        ; implicit-def: $vgpr10_vgpr11_vgpr12_vgpr13
                                        ; implicit-def: $vgpr6_vgpr7_vgpr8_vgpr9
.LBB4_118:
	s_andn2_saveexec_b64 s[0:1], s[14:15]
	s_cbranch_execz .LBB4_124
; %bb.119:
	s_and_saveexec_b64 s[0:1], vcc
	s_cbranch_execnz .LBB4_125
; %bb.120:
	s_or_b64 exec, exec, s[0:1]
	v_cmp_gt_i32_e32 vcc, s17, v20
	s_and_saveexec_b64 s[0:1], vcc
	s_cbranch_execnz .LBB4_126
.LBB4_121:
	s_or_b64 exec, exec, s[0:1]
	v_cmp_gt_i32_e32 vcc, s17, v1
	s_and_saveexec_b64 s[0:1], vcc
	s_cbranch_execnz .LBB4_127
.LBB4_122:
	s_or_b64 exec, exec, s[0:1]
	v_cmp_gt_i32_e32 vcc, s17, v0
	s_and_saveexec_b64 s[0:1], vcc
	s_cbranch_execz .LBB4_124
.LBB4_123:
	v_mad_i64_i32 v[0:1], s[0:1], s16, v0, 0
	v_lshlrev_b64 v[0:1], 2, v[0:1]
	v_ashrrev_i32_e32 v25, 31, v24
	v_mov_b32_e32 v2, s21
	v_add_co_u32_e32 v3, vcc, s20, v0
	v_addc_co_u32_e32 v2, vcc, v2, v1, vcc
	v_lshlrev_b64 v[0:1], 2, v[24:25]
	v_add_co_u32_e32 v0, vcc, v3, v0
	v_addc_co_u32_e32 v1, vcc, v2, v1, vcc
	global_store_dwordx4 v[0:1], v[6:9], off
.LBB4_124:
	s_endpgm
.LBB4_125:
	v_mad_i64_i32 v[18:19], s[2:3], s16, v18, 0
	v_lshlrev_b64 v[18:19], 2, v[18:19]
	v_ashrrev_i32_e32 v25, 31, v24
	v_mov_b32_e32 v21, s21
	v_add_co_u32_e32 v22, vcc, s20, v18
	v_addc_co_u32_e32 v21, vcc, v21, v19, vcc
	v_lshlrev_b64 v[18:19], 2, v[24:25]
	v_add_co_u32_e32 v18, vcc, v22, v18
	v_addc_co_u32_e32 v19, vcc, v21, v19, vcc
	global_store_dwordx4 v[18:19], v[2:5], off
	s_or_b64 exec, exec, s[0:1]
	v_cmp_gt_i32_e32 vcc, s17, v20
	s_and_saveexec_b64 s[0:1], vcc
	s_cbranch_execz .LBB4_121
.LBB4_126:
	v_mad_i64_i32 v[2:3], s[2:3], s16, v20, 0
	v_lshlrev_b64 v[2:3], 2, v[2:3]
	v_ashrrev_i32_e32 v25, 31, v24
	v_mov_b32_e32 v4, s21
	v_add_co_u32_e32 v5, vcc, s20, v2
	v_addc_co_u32_e32 v4, vcc, v4, v3, vcc
	v_lshlrev_b64 v[2:3], 2, v[24:25]
	v_add_co_u32_e32 v2, vcc, v5, v2
	v_addc_co_u32_e32 v3, vcc, v4, v3, vcc
	global_store_dwordx4 v[2:3], v[14:17], off
	s_or_b64 exec, exec, s[0:1]
	v_cmp_gt_i32_e32 vcc, s17, v1
	s_and_saveexec_b64 s[0:1], vcc
	s_cbranch_execz .LBB4_122
.LBB4_127:
	v_mad_i64_i32 v[2:3], s[2:3], s16, v1, 0
	v_lshlrev_b64 v[2:3], 2, v[2:3]
	v_ashrrev_i32_e32 v25, 31, v24
	v_mov_b32_e32 v1, s21
	v_add_co_u32_e32 v4, vcc, s20, v2
	v_addc_co_u32_e32 v1, vcc, v1, v3, vcc
	v_lshlrev_b64 v[2:3], 2, v[24:25]
	v_add_co_u32_e32 v2, vcc, v4, v2
	v_addc_co_u32_e32 v3, vcc, v1, v3, vcc
	global_store_dwordx4 v[2:3], v[10:13], off
	s_or_b64 exec, exec, s[0:1]
	v_cmp_gt_i32_e32 vcc, s17, v0
	s_and_saveexec_b64 s[0:1], vcc
	s_cbranch_execnz .LBB4_123
	s_branch .LBB4_124
.LBB4_128:
	v_ashrrev_i32_e32 v25, 31, v24
	v_lshlrev_b64 v[20:21], 2, v[24:25]
	v_add_co_u32_e64 v20, s[4:5], v18, v20
	v_addc_co_u32_e64 v21, s[4:5], v19, v21, s[4:5]
	global_store_dword v[20:21], v2, off glc slc
	s_or_b64 exec, exec, s[12:13]
	s_and_saveexec_b64 s[12:13], s[10:11]
	s_cbranch_execz .LBB4_102
.LBB4_129:
	v_ashrrev_i32_e32 v25, 31, v24
	v_lshlrev_b64 v[20:21], 2, v[24:25]
	v_add_co_u32_e64 v20, s[4:5], v13, v20
	v_addc_co_u32_e64 v21, s[4:5], v17, v21, s[4:5]
	global_store_dword v[20:21], v14, off glc slc
	s_or_b64 exec, exec, s[12:13]
	s_and_saveexec_b64 s[12:13], s[8:9]
	s_cbranch_execz .LBB4_103
.LBB4_130:
	v_ashrrev_i32_e32 v25, 31, v24
	v_lshlrev_b64 v[20:21], 2, v[24:25]
	v_add_co_u32_e64 v20, s[4:5], v5, v20
	v_addc_co_u32_e64 v21, s[4:5], v9, v21, s[4:5]
	global_store_dword v[20:21], v10, off glc slc
	s_or_b64 exec, exec, s[12:13]
	s_and_b64 exec, exec, s[6:7]
	s_cbranch_execnz .LBB4_104
	s_branch .LBB4_105
.LBB4_131:
	v_ashrrev_i32_e32 v25, 31, v24
	v_lshlrev_b64 v[20:21], 2, v[24:25]
	v_add_co_u32_e64 v20, s[2:3], v18, v20
	v_addc_co_u32_e64 v21, s[2:3], v19, v21, s[2:3]
	global_store_dword v[20:21], v3, off offset:4 glc slc
	s_or_b64 exec, exec, s[12:13]
	s_and_saveexec_b64 s[12:13], s[10:11]
	s_cbranch_execz .LBB4_108
.LBB4_132:
	v_ashrrev_i32_e32 v25, 31, v24
	v_lshlrev_b64 v[2:3], 2, v[24:25]
	v_add_co_u32_e64 v2, s[2:3], v13, v2
	v_addc_co_u32_e64 v3, s[2:3], v17, v3, s[2:3]
	global_store_dword v[2:3], v15, off offset:4 glc slc
	s_or_b64 exec, exec, s[12:13]
	s_and_saveexec_b64 s[12:13], s[8:9]
	s_cbranch_execz .LBB4_109
.LBB4_133:
	v_ashrrev_i32_e32 v25, 31, v24
	v_lshlrev_b64 v[2:3], 2, v[24:25]
	v_add_co_u32_e64 v2, s[2:3], v5, v2
	v_addc_co_u32_e64 v3, s[2:3], v9, v3, s[2:3]
	global_store_dword v[2:3], v11, off offset:4 glc slc
	s_or_b64 exec, exec, s[12:13]
	s_and_b64 exec, exec, s[6:7]
	s_cbranch_execnz .LBB4_110
	s_branch .LBB4_111
.LBB4_134:
	v_ashrrev_i32_e32 v25, 31, v24
	v_lshlrev_b64 v[2:3], 2, v[24:25]
	v_add_co_u32_e64 v2, s[0:1], v18, v2
	v_addc_co_u32_e64 v3, s[0:1], v19, v3, s[0:1]
	global_store_dword v[2:3], v4, off offset:8 glc slc
	s_or_b64 exec, exec, s[4:5]
	s_and_saveexec_b64 s[4:5], s[10:11]
	s_cbranch_execz .LBB4_114
.LBB4_135:
	v_ashrrev_i32_e32 v25, 31, v24
	v_lshlrev_b64 v[2:3], 2, v[24:25]
	v_add_co_u32_e64 v2, s[0:1], v13, v2
	v_addc_co_u32_e64 v3, s[0:1], v17, v3, s[0:1]
	global_store_dword v[2:3], v16, off offset:8 glc slc
	s_or_b64 exec, exec, s[4:5]
	s_and_saveexec_b64 s[4:5], s[8:9]
	s_cbranch_execz .LBB4_115
.LBB4_136:
	v_ashrrev_i32_e32 v25, 31, v24
	v_lshlrev_b64 v[2:3], 2, v[24:25]
	v_add_co_u32_e64 v2, s[0:1], v5, v2
	v_addc_co_u32_e64 v3, s[0:1], v9, v3, s[0:1]
	global_store_dword v[2:3], v12, off offset:8 glc slc
	s_or_b64 exec, exec, s[4:5]
	s_and_b64 exec, exec, s[6:7]
	s_cbranch_execnz .LBB4_116
	s_branch .LBB4_117
	.section	.rodata,"a",@progbits
	.p2align	6, 0x0
	.amdhsa_kernel _Z25gemm_bf16_f32_mfma_routerPK14__hip_bfloat16PKfPfS1_iii
		.amdhsa_group_segment_fixed_size 17408
		.amdhsa_private_segment_fixed_size 0
		.amdhsa_kernarg_size 44
		.amdhsa_user_sgpr_count 6
		.amdhsa_user_sgpr_private_segment_buffer 1
		.amdhsa_user_sgpr_dispatch_ptr 0
		.amdhsa_user_sgpr_queue_ptr 0
		.amdhsa_user_sgpr_kernarg_segment_ptr 1
		.amdhsa_user_sgpr_dispatch_id 0
		.amdhsa_user_sgpr_flat_scratch_init 0
		.amdhsa_user_sgpr_kernarg_preload_length 0
		.amdhsa_user_sgpr_kernarg_preload_offset 0
		.amdhsa_user_sgpr_private_segment_size 0
		.amdhsa_uses_dynamic_stack 0
		.amdhsa_system_sgpr_private_segment_wavefront_offset 0
		.amdhsa_system_sgpr_workgroup_id_x 1
		.amdhsa_system_sgpr_workgroup_id_y 1
		.amdhsa_system_sgpr_workgroup_id_z 0
		.amdhsa_system_sgpr_workgroup_info 0
		.amdhsa_system_vgpr_workitem_id 0
		.amdhsa_next_free_vgpr 56
		.amdhsa_next_free_sgpr 35
		.amdhsa_accum_offset 56
		.amdhsa_reserve_vcc 1
		.amdhsa_reserve_flat_scratch 0
		.amdhsa_float_round_mode_32 0
		.amdhsa_float_round_mode_16_64 0
		.amdhsa_float_denorm_mode_32 3
		.amdhsa_float_denorm_mode_16_64 3
		.amdhsa_dx10_clamp 1
		.amdhsa_ieee_mode 1
		.amdhsa_fp16_overflow 0
		.amdhsa_tg_split 0
		.amdhsa_exception_fp_ieee_invalid_op 0
		.amdhsa_exception_fp_denorm_src 0
		.amdhsa_exception_fp_ieee_div_zero 0
		.amdhsa_exception_fp_ieee_overflow 0
		.amdhsa_exception_fp_ieee_underflow 0
		.amdhsa_exception_fp_ieee_inexact 0
		.amdhsa_exception_int_div_zero 0
	.end_amdhsa_kernel
	.text
.Lfunc_end4:
	.size	_Z25gemm_bf16_f32_mfma_routerPK14__hip_bfloat16PKfPfS1_iii, .Lfunc_end4-_Z25gemm_bf16_f32_mfma_routerPK14__hip_bfloat16PKfPfS1_iii
                                        ; -- End function
	.section	.AMDGPU.csdata,"",@progbits
; Kernel info:
; codeLenInByte = 3992
; NumSgprs: 39
; NumVgprs: 56
; NumAgprs: 0
; TotalNumVgprs: 56
; ScratchSize: 0
; MemoryBound: 0
; FloatMode: 240
; IeeeMode: 1
; LDSByteSize: 17408 bytes/workgroup (compile time only)
; SGPRBlocks: 4
; VGPRBlocks: 6
; NumSGPRsForWavesPerEU: 39
; NumVGPRsForWavesPerEU: 56
; AccumOffset: 56
; Occupancy: 8
; WaveLimiterHint : 0
; COMPUTE_PGM_RSRC2:SCRATCH_EN: 0
; COMPUTE_PGM_RSRC2:USER_SGPR: 6
; COMPUTE_PGM_RSRC2:TRAP_HANDLER: 0
; COMPUTE_PGM_RSRC2:TGID_X_EN: 1
; COMPUTE_PGM_RSRC2:TGID_Y_EN: 1
; COMPUTE_PGM_RSRC2:TGID_Z_EN: 0
; COMPUTE_PGM_RSRC2:TIDIG_COMP_CNT: 0
; COMPUTE_PGM_RSRC3_GFX90A:ACCUM_OFFSET: 13
; COMPUTE_PGM_RSRC3_GFX90A:TG_SPLIT: 0
	.text
	.protected	_Z27moe_mlp1_swiglu_mfma_kernelPKiiiPKfPfPK14__hip_bfloat16S6_iixxff ; -- Begin function _Z27moe_mlp1_swiglu_mfma_kernelPKiiiPKfPfPK14__hip_bfloat16S6_iixxff
	.globl	_Z27moe_mlp1_swiglu_mfma_kernelPKiiiPKfPfPK14__hip_bfloat16S6_iixxff
	.p2align	8
	.type	_Z27moe_mlp1_swiglu_mfma_kernelPKiiiPKfPfPK14__hip_bfloat16S6_iixxff,@function
_Z27moe_mlp1_swiglu_mfma_kernelPKiiiPKfPfPK14__hip_bfloat16S6_iixxff: ; @_Z27moe_mlp1_swiglu_mfma_kernelPKiiiPKfPfPK14__hip_bfloat16S6_iixxff
; %bb.0:
	s_load_dwordx2 s[0:1], s[4:5], 0x8
	s_waitcnt lgkmcnt(0)
	s_cmp_ge_i32 s8, s1
	s_cbranch_scc1 .LBB5_135
; %bb.1:
	s_load_dwordx2 s[2:3], s[4:5], 0x0
	s_load_dwordx2 s[24:25], s[4:5], 0x30
	s_add_i32 s0, s8, s0
	s_mul_i32 s0, s0, 3
	s_ashr_i32 s1, s0, 31
	s_lshl_b64 s[0:1], s[0:1], 2
	s_waitcnt lgkmcnt(0)
	s_add_u32 s2, s2, s0
	s_addc_u32 s3, s3, s1
	s_load_dwordx2 s[26:27], s[2:3], 0x4
	s_cmp_eq_u32 s25, 0
	s_cselect_b64 s[0:1], -1, 0
	s_waitcnt lgkmcnt(0)
	s_cmp_eq_u32 s27, 0
	s_cselect_b64 s[8:9], -1, 0
	s_or_b64 s[0:1], s[0:1], s[8:9]
	s_cmp_eq_u32 s24, 0
	s_cselect_b64 s[8:9], -1, 0
	s_or_b64 s[0:1], s[8:9], s[0:1]
	s_and_b64 vcc, exec, s[0:1]
	s_cbranch_vccnz .LBB5_135
; %bb.2:
	s_load_dword s34, s[2:3], 0x0
	s_load_dwordx2 s[0:1], s[4:5], 0x28
	s_load_dwordx4 s[16:19], s[4:5], 0x38
	s_mov_b64 s[10:11], 0
	s_waitcnt lgkmcnt(0)
	s_ashr_i32 s35, s34, 31
	s_cmp_eq_u64 s[0:1], 0
	s_cbranch_scc1 .LBB5_4
; %bb.3:
	s_mul_i32 s2, s34, s19
	s_mul_hi_u32 s3, s34, s18
	s_add_i32 s2, s3, s2
	s_mul_i32 s3, s35, s18
	s_add_i32 s3, s2, s3
	s_mul_i32 s2, s34, s18
	s_lshl_b64 s[2:3], s[2:3], 1
	s_add_u32 s10, s0, s2
	s_addc_u32 s11, s1, s3
.LBB5_4:
	s_lshl_b32 s28, s25, 1
	s_lshl_b32 s36, s7, 8
	s_cmp_lt_i32 s36, s28
	s_cselect_b64 s[0:1], -1, 0
	s_lshl_b32 s37, s6, 6
	s_cmp_lt_i32 s37, s27
	s_cselect_b64 s[2:3], -1, 0
	s_and_b64 s[0:1], s[0:1], s[2:3]
	s_andn2_b64 vcc, exec, s[0:1]
	s_cbranch_vccnz .LBB5_135
; %bb.5:
	v_lshrrev_b32_e32 v2, 2, v0
	v_and_b32_e32 v1, 0xf0, v2
	v_or_b32_e32 v8, s36, v1
	v_and_b32_e32 v44, 12, v2
	s_mov_b32 s0, 0
	v_or_b32_e32 v6, v8, v44
	s_cmp_lg_u64 s[10:11], 0
	s_mov_b32 s2, s0
	s_mov_b32 s3, s0
	s_cselect_b64 s[14:15], -1, 0
	v_cmp_gt_i32_e32 vcc, s28, v6
	s_mov_b32 s1, s0
	v_pk_mov_b32 v[4:5], s[2:3], s[2:3] op_sel:[0,1]
	s_and_b64 s[8:9], s[14:15], vcc
	v_pk_mov_b32 v[2:3], s[0:1], s[0:1] op_sel:[0,1]
	s_and_saveexec_b64 s[2:3], s[8:9]
	s_cbranch_execz .LBB5_7
; %bb.6:
	v_ashrrev_i32_e32 v7, 31, v6
	v_lshlrev_b64 v[2:3], 1, v[6:7]
	v_mov_b32_e32 v4, s11
	v_add_co_u32_e64 v2, s[0:1], s10, v2
	v_addc_co_u32_e64 v3, s[0:1], v4, v3, s[0:1]
	flat_load_ushort v2, v[2:3]
	v_mov_b32_e32 v3, 0
	v_mov_b32_e32 v4, v3
	;; [unrolled: 1-line block ×3, first 2 shown]
	s_waitcnt vmcnt(0) lgkmcnt(0)
	v_lshlrev_b32_e32 v2, 16, v2
.LBB5_7:
	s_or_b64 exec, exec, s[2:3]
	v_or_b32_e32 v7, 1, v6
	v_cmp_gt_i32_e64 s[12:13], s28, v7
	s_and_b64 s[0:1], s[14:15], s[12:13]
	s_and_saveexec_b64 s[2:3], s[0:1]
	s_cbranch_execz .LBB5_9
; %bb.8:
	v_ashrrev_i32_e32 v7, 31, v6
	v_lshlrev_b64 v[10:11], 1, v[6:7]
	v_mov_b32_e32 v3, s11
	v_add_co_u32_e64 v10, s[0:1], s10, v10
	v_addc_co_u32_e64 v11, s[0:1], v3, v11, s[0:1]
	flat_load_ushort v3, v[10:11] offset:2
	s_waitcnt vmcnt(0) lgkmcnt(0)
	v_lshlrev_b32_e32 v3, 16, v3
.LBB5_9:
	s_or_b64 exec, exec, s[2:3]
	v_or_b32_e32 v9, 2, v6
	v_cmp_gt_i32_e64 s[8:9], s28, v9
	s_and_b64 s[0:1], s[14:15], s[8:9]
	s_and_saveexec_b64 s[2:3], s[0:1]
	s_cbranch_execz .LBB5_11
; %bb.10:
	v_ashrrev_i32_e32 v7, 31, v6
	v_lshlrev_b64 v[10:11], 1, v[6:7]
	v_mov_b32_e32 v4, s11
	v_add_co_u32_e64 v10, s[0:1], s10, v10
	v_addc_co_u32_e64 v11, s[0:1], v4, v11, s[0:1]
	flat_load_ushort v4, v[10:11] offset:4
	s_waitcnt vmcnt(0) lgkmcnt(0)
	v_lshlrev_b32_e32 v4, 16, v4
.LBB5_11:
	s_or_b64 exec, exec, s[2:3]
	v_or_b32_e32 v10, 3, v6
	v_cmp_gt_i32_e64 s[2:3], s28, v10
	v_cmp_le_i32_e64 s[0:1], s28, v10
	s_and_b64 s[2:3], s[14:15], s[2:3]
	s_and_saveexec_b64 s[14:15], s[2:3]
	s_cbranch_execz .LBB5_13
; %bb.12:
	v_ashrrev_i32_e32 v7, 31, v6
	v_lshlrev_b64 v[12:13], 1, v[6:7]
	v_mov_b32_e32 v5, s11
	v_add_co_u32_e64 v12, s[2:3], s10, v12
	v_addc_co_u32_e64 v13, s[2:3], v5, v13, s[2:3]
	flat_load_ushort v5, v[12:13] offset:6
	s_waitcnt vmcnt(0) lgkmcnt(0)
	v_lshlrev_b32_e32 v5, 16, v5
.LBB5_13:
	s_or_b64 exec, exec, s[14:15]
	s_add_i32 s2, s27, 63
	s_ashr_i32 s3, s2, 31
	s_lshr_b32 s3, s3, 26
	s_add_i32 s2, s2, s3
	s_ashr_i32 s7, s2, 6
	s_cmp_lt_i32 s6, s7
	s_cbranch_scc0 .LBB5_135
; %bb.14:
	s_add_i32 s2, s24, 63
	s_ashr_i32 s3, s2, 31
	s_load_dwordx4 s[20:23], s[4:5], 0x10
	s_load_dwordx2 s[14:15], s[4:5], 0x20
	s_lshr_b32 s3, s3, 26
	s_add_i32 s2, s2, s3
	s_ashr_i32 s33, s2, 6
	s_mul_hi_i32 s3, s26, s24
	s_mul_i32 s2, s26, s24
	s_ashr_i32 s49, s26, 31
	s_ashr_i32 s38, s24, 31
	s_lshl_b64 s[2:3], s[2:3], 2
	v_lshlrev_b32_e32 v7, 2, v0
	s_waitcnt lgkmcnt(0)
	s_add_u32 s10, s20, s2
	v_and_b32_e32 v11, 60, v7
	s_addc_u32 s11, s21, s3
	v_lshlrev_b32_e32 v7, 2, v11
	v_mov_b32_e32 v12, s11
	v_add_co_u32_e64 v47, s[10:11], s10, v7
	v_and_b32_e32 v45, 15, v0
	s_mul_hi_i32 s3, s26, s25
	s_mul_i32 s2, s26, s25
	v_addc_co_u32_e64 v48, s[10:11], 0, v12, s[10:11]
	s_lshl_b64 s[2:3], s[2:3], 2
	v_lshrrev_b32_e32 v46, 4, v0
	s_movk_i32 s10, 0x44
	v_or_b32_e32 v7, v8, v45
	v_ashrrev_i32_e32 v6, 1, v6
	s_mov_b32 s48, s26
	s_add_u32 s26, s22, s2
	v_mad_u32_u24 v49, v46, s10, v11
	v_cmp_gt_i32_e64 s[10:11], s28, v7
	v_ashrrev_i32_e32 v7, 31, v6
	s_addc_u32 s41, s23, s3
	v_lshlrev_b64 v[26:27], 2, v[6:7]
	s_load_dwordx2 s[18:19], s[4:5], 0x48
	s_load_dword s42, s[4:5], 0x50
	v_mov_b32_e32 v7, s41
	v_add_co_u32_e64 v51, s[4:5], s26, v26
	s_cmp_gt_i32 s24, 0
	v_addc_co_u32_e64 v52, s[4:5], v7, v27, s[4:5]
	s_cselect_b64 s[22:23], -1, 0
	s_and_b64 s[12:13], vcc, s[12:13]
	v_cmp_gt_i32_e32 vcc, s25, v6
	v_cmp_gt_i32_e64 s[4:5], s28, v10
	v_ashrrev_i32_e32 v6, 1, v9
	v_lshlrev_b32_e32 v8, 4, v45
	s_and_b64 s[8:9], s[8:9], s[4:5]
	v_cmp_gt_i32_e64 s[4:5], s25, v6
	s_and_b64 s[28:29], s[12:13], vcc
	v_mov_b32_e32 v9, s21
	v_add_co_u32_e32 v8, vcc, s20, v8
	s_and_b64 s[30:31], s[8:9], s[4:5]
	v_addc_co_u32_e32 v9, vcc, 0, v9, vcc
	s_movk_i32 s4, 0x100
	v_add_co_u32_e32 v28, vcc, s4, v8
	s_mul_i32 s4, s16, s35
	s_mul_hi_u32 s5, s16, s34
	s_add_i32 s4, s5, s4
	s_mul_i32 s5, s17, s34
	v_add3_u32 v1, s36, v1, v45
	v_addc_co_u32_e32 v29, vcc, 0, v9, vcc
	s_add_i32 s5, s4, s5
	s_mul_i32 s4, s16, s34
	v_mad_i64_i32 v[8:9], s[8:9], s24, v1, 0
	s_lshl_b64 s[4:5], s[4:5], 1
	v_lshlrev_b64 v[8:9], 1, v[8:9]
	v_mov_b32_e32 v1, s5
	v_add_co_u32_e32 v8, vcc, s4, v8
	v_lshrrev_b32_e32 v0, 1, v0
	v_addc_co_u32_e32 v1, vcc, v1, v9, vcc
	v_and_b32_e32 v0, 24, v0
	v_add_co_u32_e32 v0, vcc, v8, v0
	v_addc_co_u32_e32 v1, vcc, 0, v1, vcc
	v_mov_b32_e32 v8, s15
	v_add_co_u32_e32 v0, vcc, s14, v0
	v_addc_co_u32_e32 v1, vcc, v1, v8, vcc
	s_movk_i32 s4, 0x64
	s_waitcnt lgkmcnt(0)
	s_xor_b32 s43, s19, 0x80000000
	s_max_i32 s46, s33, 1
	v_ashrrev_i32_e32 v7, 31, v6
	v_add_co_u32_e32 v0, vcc, s4, v0
	s_mov_b32 s39, s24
	s_mov_b32 s40, s25
	v_cmp_gt_i32_e64 s[2:3], s24, v11
	v_lshlrev_b32_e32 v50, 1, v49
	v_mul_u32_u24_e32 v53, 0x88, v45
	s_mov_b32 s25, s43
	s_mov_b32 s44, s19
	;; [unrolled: 1-line block ×3, first 2 shown]
	s_lshl_b32 s46, s46, 6
	s_lshl_b64 s[20:21], s[48:49], 2
	v_add_u32_e32 v30, s37, v46
	s_lshl_b32 s47, s42, 6
	v_or_b32_e32 v54, 64, v11
	v_addc_co_u32_e32 v1, vcc, 0, v1, vcc
	s_mov_b32 s48, 0x7f800000
	s_movk_i32 s49, 0x7fff
	s_mov_b32 s50, 0xffff
	s_mov_b32 s51, 0x7060302
	;; [unrolled: 1-line block ×3, first 2 shown]
	v_mov_b32_e32 v55, 0
	v_lshlrev_b64 v[32:33], 2, v[6:7]
	s_branch .LBB5_17
.LBB5_15:                               ;   in Loop: Header=BB5_17 Depth=1
	s_or_b64 exec, exec, s[8:9]
.LBB5_16:                               ;   in Loop: Header=BB5_17 Depth=1
	s_or_b64 exec, exec, s[4:5]
	s_add_i32 s6, s42, s6
	s_cmp_lt_i32 s6, s7
	v_add_u32_e32 v30, s47, v30
	s_barrier
	s_cbranch_scc0 .LBB5_135
.LBB5_17:                               ; =>This Loop Header: Depth=1
                                        ;     Child Loop BB5_39 Depth 2
	s_lshl_b32 s16, s6, 6
	v_or_b32_e32 v8, s16, v46
	v_cmp_gt_i32_e64 s[4:5], s27, v8
	s_and_b64 s[12:13], s[4:5], s[2:3]
	v_mov_b32_e32 v7, 0
	v_mov_b32_e32 v6, 0
	s_and_saveexec_b64 s[8:9], s[12:13]
	s_cbranch_execz .LBB5_35
; %bb.18:                               ;   in Loop: Header=BB5_17 Depth=1
	v_mad_i64_i32 v[6:7], s[12:13], v8, s39, 0
	v_lshlrev_b64 v[6:7], 2, v[6:7]
	v_add_co_u32_e32 v6, vcc, v47, v6
	v_addc_co_u32_e32 v7, vcc, v48, v7, vcc
	global_load_dwordx4 v[6:9], v[6:7], off
	s_waitcnt vmcnt(0)
	v_and_b32_e32 v10, 0x7f800000, v6
	v_cmp_ne_u32_e32 vcc, s48, v10
                                        ; implicit-def: $vgpr10
	s_and_saveexec_b64 s[12:13], vcc
	s_xor_b64 s[12:13], exec, s[12:13]
; %bb.19:                               ;   in Loop: Header=BB5_17 Depth=1
	v_bfe_u32 v10, v6, 16, 1
	v_add3_u32 v10, v6, v10, s49
; %bb.20:                               ;   in Loop: Header=BB5_17 Depth=1
	s_andn2_saveexec_b64 s[12:13], s[12:13]
; %bb.21:                               ;   in Loop: Header=BB5_17 Depth=1
	v_or_b32_e32 v10, 0x10000, v6
	v_cmp_eq_u32_sdwa vcc, v6, v55 src0_sel:WORD_0 src1_sel:DWORD
	v_cndmask_b32_e32 v10, v10, v6, vcc
; %bb.22:                               ;   in Loop: Header=BB5_17 Depth=1
	s_or_b64 exec, exec, s[12:13]
	v_and_b32_e32 v6, 0x7f800000, v7
	v_cmp_ne_u32_e32 vcc, s48, v6
                                        ; implicit-def: $vgpr11
	s_and_saveexec_b64 s[12:13], vcc
	s_xor_b64 s[12:13], exec, s[12:13]
; %bb.23:                               ;   in Loop: Header=BB5_17 Depth=1
	v_bfe_u32 v6, v7, 16, 1
	v_add3_u32 v11, v7, v6, s49
; %bb.24:                               ;   in Loop: Header=BB5_17 Depth=1
	s_andn2_saveexec_b64 s[12:13], s[12:13]
; %bb.25:                               ;   in Loop: Header=BB5_17 Depth=1
	v_or_b32_e32 v6, 0x10000, v7
	v_cmp_eq_u32_sdwa vcc, v7, v55 src0_sel:WORD_0 src1_sel:DWORD
	v_cndmask_b32_e32 v11, v6, v7, vcc
; %bb.26:                               ;   in Loop: Header=BB5_17 Depth=1
	s_or_b64 exec, exec, s[12:13]
	v_and_b32_e32 v6, 0x7f800000, v8
	v_cmp_ne_u32_e32 vcc, s48, v6
                                        ; implicit-def: $vgpr12
	s_and_saveexec_b64 s[12:13], vcc
	s_xor_b64 s[12:13], exec, s[12:13]
; %bb.27:                               ;   in Loop: Header=BB5_17 Depth=1
	v_bfe_u32 v6, v8, 16, 1
	v_add3_u32 v12, v8, v6, s49
; %bb.28:                               ;   in Loop: Header=BB5_17 Depth=1
	s_andn2_saveexec_b64 s[12:13], s[12:13]
; %bb.29:                               ;   in Loop: Header=BB5_17 Depth=1
	v_or_b32_e32 v6, 0x10000, v8
	v_cmp_eq_u32_sdwa vcc, v8, v55 src0_sel:WORD_0 src1_sel:DWORD
	v_cndmask_b32_e32 v12, v6, v8, vcc
; %bb.30:                               ;   in Loop: Header=BB5_17 Depth=1
	s_or_b64 exec, exec, s[12:13]
	v_and_b32_e32 v6, 0x7f800000, v9
	v_cmp_ne_u32_e32 vcc, s48, v6
                                        ; implicit-def: $vgpr13
	s_and_saveexec_b64 s[12:13], vcc
	s_xor_b64 s[12:13], exec, s[12:13]
; %bb.31:                               ;   in Loop: Header=BB5_17 Depth=1
	v_bfe_u32 v6, v9, 16, 1
	v_add3_u32 v13, v9, v6, s49
                                        ; implicit-def: $vgpr6_vgpr7_vgpr8_vgpr9
; %bb.32:                               ;   in Loop: Header=BB5_17 Depth=1
	s_andn2_saveexec_b64 s[12:13], s[12:13]
; %bb.33:                               ;   in Loop: Header=BB5_17 Depth=1
	v_or_b32_e32 v6, 0x10000, v9
	v_cmp_eq_u32_sdwa vcc, v9, v55 src0_sel:WORD_0 src1_sel:DWORD
	v_cndmask_b32_e32 v13, v6, v9, vcc
; %bb.34:                               ;   in Loop: Header=BB5_17 Depth=1
	s_or_b64 exec, exec, s[12:13]
	v_perm_b32 v6, v11, v10, s51
	v_perm_b32 v7, v13, v12, s51
.LBB5_35:                               ;   in Loop: Header=BB5_17 Depth=1
	s_or_b64 exec, exec, s[8:9]
	ds_write_b64 v50, v[6:7]
	v_pk_mov_b32 v[20:21], v[4:5], v[4:5] op_sel:[0,1]
	v_pk_mov_b32 v[16:17], v[4:5], v[4:5] op_sel:[0,1]
	;; [unrolled: 1-line block ×4, first 2 shown]
	s_andn2_b64 vcc, exec, s[22:23]
	v_pk_mov_b32 v[18:19], v[2:3], v[2:3] op_sel:[0,1]
	v_pk_mov_b32 v[14:15], v[2:3], v[2:3] op_sel:[0,1]
	;; [unrolled: 1-line block ×4, first 2 shown]
	s_waitcnt lgkmcnt(0)
	s_barrier
	s_cbranch_vccnz .LBB5_106
; %bb.36:                               ;   in Loop: Header=BB5_17 Depth=1
	v_ashrrev_i32_e32 v31, 31, v30
	v_lshlrev_b64 v[6:7], 2, v[30:31]
	v_mov_b32_e32 v8, s21
	v_add_co_u32_e32 v6, vcc, s20, v6
	v_addc_co_u32_e32 v7, vcc, v8, v7, vcc
	v_mul_lo_u32 v7, s39, v7
	v_mul_lo_u32 v8, s38, v6
	v_mad_u64_u32 v[34:35], s[8:9], s39, v6, v[28:29]
	v_add3_u32 v35, v8, v35, v7
	v_pk_mov_b32 v[20:21], v[4:5], v[4:5] op_sel:[0,1]
	v_pk_mov_b32 v[16:17], v[4:5], v[4:5] op_sel:[0,1]
	;; [unrolled: 1-line block ×4, first 2 shown]
	s_mov_b32 s17, 0
	s_mov_b32 s34, 1
	v_pk_mov_b32 v[36:37], v[0:1], v[0:1] op_sel:[0,1]
	v_pk_mov_b32 v[18:19], v[2:3], v[2:3] op_sel:[0,1]
	;; [unrolled: 1-line block ×5, first 2 shown]
	s_branch .LBB5_39
.LBB5_37:                               ;   in Loop: Header=BB5_39 Depth=2
	s_or_b64 exec, exec, s[12:13]
.LBB5_38:                               ;   in Loop: Header=BB5_39 Depth=2
	s_or_b64 exec, exec, s[8:9]
	s_nop 3
	ds_read2_b64 v[22:25], v56 offset0:8 offset1:12
	v_add_co_u32_e32 v34, vcc, 0x100, v34
	v_addc_co_u32_e32 v35, vcc, 0, v35, vcc
	s_waitcnt vmcnt(0) lgkmcnt(0)
	v_mfma_f32_16x16x16bf16_1k v[18:21], v[42:43], v[22:23], v[18:21]
	v_add_u32_e32 v22, 0x880, v56
	ds_read2_b64 v[58:61], v22 offset0:8 offset1:12
	v_add_u32_e32 v22, 0x1100, v56
	ds_read2_b64 v[62:65], v22 offset0:8 offset1:12
	v_add_u32_e32 v22, 0x1980, v56
	s_add_i32 s17, s17, 64
	s_add_i32 s34, s34, 1
	s_waitcnt lgkmcnt(1)
	v_mfma_f32_16x16x16bf16_1k v[14:17], v[42:43], v[58:59], v[14:17]
	ds_read2_b64 v[56:59], v22 offset0:8 offset1:12
	v_add_co_u32_e32 v36, vcc, 0x80, v36
	v_addc_co_u32_e32 v37, vcc, 0, v37, vcc
	s_cmp_eq_u32 s46, s17
	s_waitcnt lgkmcnt(0)
	v_mfma_f32_16x16x16bf16_1k v[6:9], v[42:43], v[62:63], v[6:9]
	s_barrier
	v_mfma_f32_16x16x16bf16_1k v[66:69], v[42:43], v[56:57], v[10:13]
	v_mfma_f32_16x16x16bf16_1k v[18:21], v[40:41], v[24:25], v[18:21]
	;; [unrolled: 1-line block ×5, first 2 shown]
	s_cbranch_scc1 .LBB5_106
.LBB5_39:                               ;   Parent Loop BB5_17 Depth=1
                                        ; =>  This Inner Loop Header: Depth=2
	s_add_i32 s8, s34, -1
	s_and_b32 s35, s8, 1
	s_cmp_ge_i32 s34, s33
	s_cbranch_scc1 .LBB5_59
; %bb.40:                               ;   in Loop: Header=BB5_39 Depth=2
	v_add_u32_e32 v22, s17, v54
	v_cmp_gt_i32_e32 vcc, s24, v22
	s_and_b64 s[12:13], s[4:5], vcc
	v_mov_b32_e32 v23, 0
	v_mov_b32_e32 v22, 0
	s_and_saveexec_b64 s[8:9], s[12:13]
	s_cbranch_execz .LBB5_58
; %bb.41:                               ;   in Loop: Header=BB5_39 Depth=2
	global_load_dwordx4 v[22:25], v[34:35], off
	s_waitcnt vmcnt(0)
	v_and_b32_e32 v31, 0x7f800000, v22
	v_cmp_ne_u32_e32 vcc, s48, v31
                                        ; implicit-def: $vgpr31
	s_and_saveexec_b64 s[12:13], vcc
	s_xor_b64 s[12:13], exec, s[12:13]
; %bb.42:                               ;   in Loop: Header=BB5_39 Depth=2
	v_bfe_u32 v31, v22, 16, 1
	v_add3_u32 v31, v22, v31, s49
; %bb.43:                               ;   in Loop: Header=BB5_39 Depth=2
	s_andn2_saveexec_b64 s[12:13], s[12:13]
; %bb.44:                               ;   in Loop: Header=BB5_39 Depth=2
	v_or_b32_e32 v31, 0x10000, v22
	v_cmp_eq_u32_sdwa vcc, v22, v55 src0_sel:WORD_0 src1_sel:DWORD
	v_cndmask_b32_e32 v31, v31, v22, vcc
; %bb.45:                               ;   in Loop: Header=BB5_39 Depth=2
	s_or_b64 exec, exec, s[12:13]
	v_and_b32_e32 v22, 0x7f800000, v23
	v_cmp_ne_u32_e32 vcc, s48, v22
                                        ; implicit-def: $vgpr38
	s_and_saveexec_b64 s[12:13], vcc
	s_xor_b64 s[12:13], exec, s[12:13]
; %bb.46:                               ;   in Loop: Header=BB5_39 Depth=2
	v_bfe_u32 v22, v23, 16, 1
	v_add3_u32 v38, v23, v22, s49
; %bb.47:                               ;   in Loop: Header=BB5_39 Depth=2
	s_andn2_saveexec_b64 s[12:13], s[12:13]
; %bb.48:                               ;   in Loop: Header=BB5_39 Depth=2
	v_or_b32_e32 v22, 0x10000, v23
	v_cmp_eq_u32_sdwa vcc, v23, v55 src0_sel:WORD_0 src1_sel:DWORD
	v_cndmask_b32_e32 v38, v22, v23, vcc
; %bb.49:                               ;   in Loop: Header=BB5_39 Depth=2
	s_or_b64 exec, exec, s[12:13]
	v_and_b32_e32 v22, 0x7f800000, v24
	v_cmp_ne_u32_e32 vcc, s48, v22
                                        ; implicit-def: $vgpr39
	s_and_saveexec_b64 s[12:13], vcc
	s_xor_b64 s[12:13], exec, s[12:13]
; %bb.50:                               ;   in Loop: Header=BB5_39 Depth=2
	v_bfe_u32 v22, v24, 16, 1
	v_add3_u32 v39, v24, v22, s49
; %bb.51:                               ;   in Loop: Header=BB5_39 Depth=2
	s_andn2_saveexec_b64 s[12:13], s[12:13]
; %bb.52:                               ;   in Loop: Header=BB5_39 Depth=2
	v_or_b32_e32 v22, 0x10000, v24
	v_cmp_eq_u32_sdwa vcc, v24, v55 src0_sel:WORD_0 src1_sel:DWORD
	v_cndmask_b32_e32 v39, v22, v24, vcc
; %bb.53:                               ;   in Loop: Header=BB5_39 Depth=2
	s_or_b64 exec, exec, s[12:13]
	v_and_b32_e32 v22, 0x7f800000, v25
	v_cmp_ne_u32_e32 vcc, s48, v22
                                        ; implicit-def: $vgpr40
	s_and_saveexec_b64 s[12:13], vcc
	s_xor_b64 s[12:13], exec, s[12:13]
; %bb.54:                               ;   in Loop: Header=BB5_39 Depth=2
	v_bfe_u32 v22, v25, 16, 1
	v_add3_u32 v40, v25, v22, s49
                                        ; implicit-def: $vgpr22_vgpr23_vgpr24_vgpr25
; %bb.55:                               ;   in Loop: Header=BB5_39 Depth=2
	s_andn2_saveexec_b64 s[12:13], s[12:13]
; %bb.56:                               ;   in Loop: Header=BB5_39 Depth=2
	v_or_b32_e32 v22, 0x10000, v25
	v_cmp_eq_u32_sdwa vcc, v25, v55 src0_sel:WORD_0 src1_sel:DWORD
	v_cndmask_b32_e32 v40, v22, v25, vcc
; %bb.57:                               ;   in Loop: Header=BB5_39 Depth=2
	s_or_b64 exec, exec, s[12:13]
	v_perm_b32 v22, v38, v31, s51
	v_perm_b32 v23, v40, v39, s51
.LBB5_58:                               ;   in Loop: Header=BB5_39 Depth=2
	s_or_b64 exec, exec, s[8:9]
	s_xor_b32 s8, s35, 1
	s_mulk_i32 s8, 0x2200
	v_lshl_add_u32 v24, v49, 1, s8
	ds_write_b64 v24, v[22:23]
.LBB5_59:                               ;   in Loop: Header=BB5_39 Depth=2
	v_mov_b32_e32 v38, 0
	v_add_u32_e32 v31, s17, v44
	v_mov_b32_e32 v22, 0
	v_mov_b32_e32 v23, 0
	s_and_saveexec_b64 s[8:9], s[10:11]
	s_cbranch_execz .LBB5_71
; %bb.60:                               ;   in Loop: Header=BB5_39 Depth=2
	v_add_u32_e32 v22, 3, v31
	v_cmp_le_i32_e32 vcc, s24, v22
                                        ; implicit-def: $vgpr23
	s_and_saveexec_b64 s[12:13], vcc
	s_xor_b64 s[12:13], exec, s[12:13]
	s_cbranch_execz .LBB5_68
; %bb.61:                               ;   in Loop: Header=BB5_39 Depth=2
	v_cmp_gt_i32_e32 vcc, s24, v31
	v_mov_b32_e32 v23, 0
	v_mov_b32_e32 v22, 0
	s_and_saveexec_b64 s[14:15], vcc
	s_cbranch_execz .LBB5_63
; %bb.62:                               ;   in Loop: Header=BB5_39 Depth=2
	global_load_ushort v22, v[36:37], off offset:-100
	s_waitcnt vmcnt(0)
	v_and_b32_e32 v22, 0xffff, v22
.LBB5_63:                               ;   in Loop: Header=BB5_39 Depth=2
	s_or_b64 exec, exec, s[14:15]
	v_add_u32_e32 v24, 1, v31
	v_cmp_gt_i32_e32 vcc, s24, v24
	s_and_saveexec_b64 s[14:15], vcc
	s_cbranch_execz .LBB5_65
; %bb.64:                               ;   in Loop: Header=BB5_39 Depth=2
	global_load_ushort v24, v[36:37], off offset:-98
	s_waitcnt vmcnt(0)
	v_perm_b32 v22, v24, v22, s52
.LBB5_65:                               ;   in Loop: Header=BB5_39 Depth=2
	s_or_b64 exec, exec, s[14:15]
	v_add_u32_e32 v24, 2, v31
	v_cmp_gt_i32_e32 vcc, s24, v24
	s_and_saveexec_b64 s[14:15], vcc
	s_cbranch_execz .LBB5_67
; %bb.66:                               ;   in Loop: Header=BB5_39 Depth=2
	global_load_ushort v24, v[36:37], off offset:-96
	s_waitcnt vmcnt(0)
	v_bfi_b32 v23, s50, v24, v23
.LBB5_67:                               ;   in Loop: Header=BB5_39 Depth=2
	s_or_b64 exec, exec, s[14:15]
.LBB5_68:                               ;   in Loop: Header=BB5_39 Depth=2
	s_andn2_saveexec_b64 s[12:13], s[12:13]
	s_cbranch_execz .LBB5_70
; %bb.69:                               ;   in Loop: Header=BB5_39 Depth=2
	global_load_dwordx2 v[22:23], v[36:37], off offset:-100
.LBB5_70:                               ;   in Loop: Header=BB5_39 Depth=2
	s_or_b64 exec, exec, s[12:13]
.LBB5_71:                               ;   in Loop: Header=BB5_39 Depth=2
	s_or_b64 exec, exec, s[8:9]
	v_mov_b32_e32 v39, 0
	s_and_saveexec_b64 s[8:9], s[10:11]
	s_cbranch_execz .LBB5_83
; %bb.72:                               ;   in Loop: Header=BB5_39 Depth=2
	v_add_u32_e32 v24, 19, v31
	v_cmp_le_i32_e32 vcc, s24, v24
                                        ; implicit-def: $vgpr39
	s_and_saveexec_b64 s[12:13], vcc
	s_xor_b64 s[12:13], exec, s[12:13]
	s_cbranch_execz .LBB5_80
; %bb.73:                               ;   in Loop: Header=BB5_39 Depth=2
	v_add_u32_e32 v24, 16, v31
	v_cmp_gt_i32_e32 vcc, s24, v24
	v_mov_b32_e32 v39, 0
	v_mov_b32_e32 v38, 0
	s_and_saveexec_b64 s[14:15], vcc
	s_cbranch_execz .LBB5_75
; %bb.74:                               ;   in Loop: Header=BB5_39 Depth=2
	global_load_ushort v24, v[36:37], off offset:-68
	s_waitcnt vmcnt(0)
	v_and_b32_e32 v38, 0xffff, v24
.LBB5_75:                               ;   in Loop: Header=BB5_39 Depth=2
	s_or_b64 exec, exec, s[14:15]
	v_add_u32_e32 v24, 17, v31
	v_cmp_gt_i32_e32 vcc, s24, v24
	s_and_saveexec_b64 s[14:15], vcc
	s_cbranch_execz .LBB5_77
; %bb.76:                               ;   in Loop: Header=BB5_39 Depth=2
	global_load_ushort v24, v[36:37], off offset:-66
	s_waitcnt vmcnt(0)
	v_perm_b32 v38, v24, v38, s52
.LBB5_77:                               ;   in Loop: Header=BB5_39 Depth=2
	s_or_b64 exec, exec, s[14:15]
	v_add_u32_e32 v24, 18, v31
	v_cmp_gt_i32_e32 vcc, s24, v24
	s_and_saveexec_b64 s[14:15], vcc
	s_cbranch_execz .LBB5_79
; %bb.78:                               ;   in Loop: Header=BB5_39 Depth=2
	global_load_ushort v24, v[36:37], off offset:-64
	s_waitcnt vmcnt(0)
	v_bfi_b32 v39, s50, v24, v39
.LBB5_79:                               ;   in Loop: Header=BB5_39 Depth=2
	s_or_b64 exec, exec, s[14:15]
.LBB5_80:                               ;   in Loop: Header=BB5_39 Depth=2
	s_andn2_saveexec_b64 s[12:13], s[12:13]
	s_cbranch_execz .LBB5_82
; %bb.81:                               ;   in Loop: Header=BB5_39 Depth=2
	global_load_dwordx2 v[38:39], v[36:37], off offset:-68
.LBB5_82:                               ;   in Loop: Header=BB5_39 Depth=2
	s_or_b64 exec, exec, s[12:13]
.LBB5_83:                               ;   in Loop: Header=BB5_39 Depth=2
	s_or_b64 exec, exec, s[8:9]
	s_mulk_i32 s35, 0x2200
	v_add_u32_e32 v24, s35, v53
	v_lshl_add_u32 v56, v44, 1, v24
	ds_read_b64 v[24:25], v56
	ds_read_b64 v[40:41], v56 offset:2176
	ds_read_b64 v[42:43], v56 offset:4352
	;; [unrolled: 1-line block ×3, first 2 shown]
	s_waitcnt vmcnt(0) lgkmcnt(3)
	v_mfma_f32_16x16x16bf16_1k v[18:21], v[22:23], v[24:25], v[18:21]
	s_waitcnt lgkmcnt(2)
	v_mfma_f32_16x16x16bf16_1k v[14:17], v[22:23], v[40:41], v[14:17]
	v_mov_b32_e32 v40, 0
	s_waitcnt lgkmcnt(1)
	v_mfma_f32_16x16x16bf16_1k v[10:13], v[22:23], v[42:43], v[10:13]
	v_mov_b32_e32 v42, 0
	v_mov_b32_e32 v43, 0
	s_waitcnt lgkmcnt(0)
	v_mfma_f32_16x16x16bf16_1k v[22:25], v[22:23], v[58:59], v[6:9]
	s_and_saveexec_b64 s[8:9], s[10:11]
	s_cbranch_execz .LBB5_95
; %bb.84:                               ;   in Loop: Header=BB5_39 Depth=2
	s_nop 4
	v_add_u32_e32 v6, 35, v31
	v_cmp_le_i32_e32 vcc, s24, v6
                                        ; implicit-def: $vgpr43
	s_and_saveexec_b64 s[12:13], vcc
	s_xor_b64 s[12:13], exec, s[12:13]
	s_cbranch_execz .LBB5_92
; %bb.85:                               ;   in Loop: Header=BB5_39 Depth=2
	v_add_u32_e32 v6, 32, v31
	v_cmp_gt_i32_e32 vcc, s24, v6
	v_mov_b32_e32 v43, 0
	v_mov_b32_e32 v42, 0
	s_and_saveexec_b64 s[14:15], vcc
	s_cbranch_execz .LBB5_87
; %bb.86:                               ;   in Loop: Header=BB5_39 Depth=2
	global_load_ushort v6, v[36:37], off offset:-36
	s_waitcnt vmcnt(0)
	v_and_b32_e32 v42, 0xffff, v6
.LBB5_87:                               ;   in Loop: Header=BB5_39 Depth=2
	s_or_b64 exec, exec, s[14:15]
	v_add_u32_e32 v6, 33, v31
	v_cmp_gt_i32_e32 vcc, s24, v6
	s_and_saveexec_b64 s[14:15], vcc
	s_cbranch_execz .LBB5_89
; %bb.88:                               ;   in Loop: Header=BB5_39 Depth=2
	global_load_ushort v6, v[36:37], off offset:-34
	s_waitcnt vmcnt(0)
	v_perm_b32 v42, v6, v42, s52
.LBB5_89:                               ;   in Loop: Header=BB5_39 Depth=2
	s_or_b64 exec, exec, s[14:15]
	v_add_u32_e32 v6, 34, v31
	v_cmp_gt_i32_e32 vcc, s24, v6
	s_and_saveexec_b64 s[14:15], vcc
	s_cbranch_execz .LBB5_91
; %bb.90:                               ;   in Loop: Header=BB5_39 Depth=2
	global_load_ushort v6, v[36:37], off offset:-32
	s_waitcnt vmcnt(0)
	v_bfi_b32 v43, s50, v6, v43
.LBB5_91:                               ;   in Loop: Header=BB5_39 Depth=2
	s_or_b64 exec, exec, s[14:15]
.LBB5_92:                               ;   in Loop: Header=BB5_39 Depth=2
	s_andn2_saveexec_b64 s[12:13], s[12:13]
	s_cbranch_execz .LBB5_94
; %bb.93:                               ;   in Loop: Header=BB5_39 Depth=2
	global_load_dwordx2 v[42:43], v[36:37], off offset:-36
.LBB5_94:                               ;   in Loop: Header=BB5_39 Depth=2
	s_or_b64 exec, exec, s[12:13]
.LBB5_95:                               ;   in Loop: Header=BB5_39 Depth=2
	s_or_b64 exec, exec, s[8:9]
	s_nop 3
	ds_read_b64 v[6:7], v56 offset:32
	ds_read_b64 v[8:9], v56 offset:2208
	ds_read_b64 v[58:59], v56 offset:4384
	ds_read_b64 v[60:61], v56 offset:6560
	v_mov_b32_e32 v41, 0
	s_waitcnt lgkmcnt(3)
	v_mfma_f32_16x16x16bf16_1k v[18:21], v[38:39], v[6:7], v[18:21]
	s_waitcnt lgkmcnt(2)
	v_mfma_f32_16x16x16bf16_1k v[14:17], v[38:39], v[8:9], v[14:17]
	;; [unrolled: 2-line block ×4, first 2 shown]
	s_and_saveexec_b64 s[8:9], s[10:11]
	s_cbranch_execz .LBB5_38
; %bb.96:                               ;   in Loop: Header=BB5_39 Depth=2
	s_nop 4
	v_add_u32_e32 v22, 51, v31
	v_cmp_le_i32_e32 vcc, s24, v22
                                        ; implicit-def: $vgpr41
	s_and_saveexec_b64 s[12:13], vcc
	s_xor_b64 s[12:13], exec, s[12:13]
	s_cbranch_execz .LBB5_104
; %bb.97:                               ;   in Loop: Header=BB5_39 Depth=2
	v_add_u32_e32 v22, 48, v31
	v_cmp_gt_i32_e32 vcc, s24, v22
	v_mov_b32_e32 v41, 0
	v_mov_b32_e32 v40, 0
	s_and_saveexec_b64 s[14:15], vcc
	s_cbranch_execz .LBB5_99
; %bb.98:                               ;   in Loop: Header=BB5_39 Depth=2
	global_load_ushort v22, v[36:37], off offset:-4
	s_waitcnt vmcnt(0)
	v_and_b32_e32 v40, 0xffff, v22
.LBB5_99:                               ;   in Loop: Header=BB5_39 Depth=2
	s_or_b64 exec, exec, s[14:15]
	v_add_u32_e32 v22, 49, v31
	v_cmp_gt_i32_e32 vcc, s24, v22
	s_and_saveexec_b64 s[14:15], vcc
	s_cbranch_execz .LBB5_101
; %bb.100:                              ;   in Loop: Header=BB5_39 Depth=2
	global_load_ushort v22, v[36:37], off offset:-2
	s_waitcnt vmcnt(0)
	v_perm_b32 v40, v22, v40, s52
.LBB5_101:                              ;   in Loop: Header=BB5_39 Depth=2
	s_or_b64 exec, exec, s[14:15]
	v_add_u32_e32 v22, 50, v31
	v_cmp_gt_i32_e32 vcc, s24, v22
	s_and_saveexec_b64 s[14:15], vcc
	s_cbranch_execz .LBB5_103
; %bb.102:                              ;   in Loop: Header=BB5_39 Depth=2
	global_load_ushort v22, v[36:37], off
	s_waitcnt vmcnt(0)
	v_bfi_b32 v41, s50, v22, v41
.LBB5_103:                              ;   in Loop: Header=BB5_39 Depth=2
	s_or_b64 exec, exec, s[14:15]
.LBB5_104:                              ;   in Loop: Header=BB5_39 Depth=2
	s_andn2_saveexec_b64 s[12:13], s[12:13]
	s_cbranch_execz .LBB5_37
; %bb.105:                              ;   in Loop: Header=BB5_39 Depth=2
	global_load_dwordx2 v[40:41], v[36:37], off offset:-4
	s_branch .LBB5_37
.LBB5_106:                              ;   in Loop: Header=BB5_17 Depth=1
	v_or_b32_e32 v25, s16, v45
	v_or_b32_e32 v24, 16, v25
	;; [unrolled: 1-line block ×4, first 2 shown]
	s_and_saveexec_b64 s[4:5], s[0:1]
	s_xor_b64 s[16:17], exec, s[4:5]
	s_cbranch_execz .LBB5_120
; %bb.107:                              ;   in Loop: Header=BB5_17 Depth=1
	v_mad_i64_i32 v[34:35], s[4:5], v25, s40, 0
	v_lshlrev_b64 v[36:37], 2, v[34:35]
	v_cmp_gt_i32_e64 s[12:13], s27, v25
	v_mov_b32_e32 v38, s41
	v_add_co_u32_e32 v35, vcc, s26, v36
	v_cmp_gt_i32_e64 s[4:5], s27, v24
	v_mad_i64_i32 v[24:25], s[8:9], v24, s40, 0
	v_addc_co_u32_e32 v36, vcc, v38, v37, vcc
	v_lshlrev_b64 v[24:25], 2, v[24:25]
	v_add_co_u32_e32 v31, vcc, s26, v24
	v_addc_co_u32_e32 v34, vcc, v38, v25, vcc
	v_mad_i64_i32 v[24:25], s[14:15], v23, s40, 0
	v_lshlrev_b64 v[24:25], 2, v[24:25]
	v_cmp_gt_i32_e64 s[8:9], s27, v23
	v_add_co_u32_e32 v24, vcc, s26, v24
	v_cmp_gt_i32_e64 s[14:15], s27, v22
	v_mad_i64_i32 v[22:23], s[34:35], v22, s40, 0
	v_addc_co_u32_e32 v25, vcc, v38, v25, vcc
	v_lshlrev_b64 v[22:23], 2, v[22:23]
	v_add_co_u32_e32 v22, vcc, s26, v22
	v_addc_co_u32_e32 v23, vcc, v38, v23, vcc
	s_and_saveexec_b64 s[34:35], s[28:29]
	s_cbranch_execz .LBB5_113
; %bb.108:                              ;   in Loop: Header=BB5_17 Depth=1
	s_and_saveexec_b64 s[36:37], s[12:13]
	s_cbranch_execnz .LBB5_129
; %bb.109:                              ;   in Loop: Header=BB5_17 Depth=1
	s_or_b64 exec, exec, s[36:37]
	s_and_saveexec_b64 s[36:37], s[4:5]
	s_cbranch_execnz .LBB5_130
.LBB5_110:                              ;   in Loop: Header=BB5_17 Depth=1
	s_or_b64 exec, exec, s[36:37]
	s_and_saveexec_b64 s[36:37], s[8:9]
	s_cbranch_execnz .LBB5_131
.LBB5_111:                              ;   in Loop: Header=BB5_17 Depth=1
	s_or_b64 exec, exec, s[36:37]
	s_and_b64 exec, exec, s[14:15]
	s_cbranch_execz .LBB5_113
.LBB5_112:                              ;   in Loop: Header=BB5_17 Depth=1
	v_max_f32_e32 v6, v6, v6
	v_max_f32_e64 v14, s19, s19
	v_min_f32_e32 v6, v6, v14
	v_mul_f32_e32 v10, s18, v6
	v_mul_f32_e32 v10, 0xbfb8aa3b, v10
	v_exp_f32_e32 v15, v10
	v_max_f32_e64 v18, -s19, -s19
	v_max_f32_e32 v7, v7, v7
	v_add_co_u32_e32 v10, vcc, v22, v26
	v_add_f32_e32 v15, 1.0, v15
	v_div_scale_f32 v19, s[36:37], v15, v15, 1.0
	v_rcp_f32_e32 v37, v19
	v_max_f32_e32 v7, v7, v18
	v_addc_co_u32_e32 v11, vcc, v23, v27, vcc
	v_min_f32_e32 v7, v7, v14
	v_fma_f32 v14, -v19, v37, 1.0
	v_fmac_f32_e32 v37, v14, v37
	v_div_scale_f32 v14, vcc, 1.0, v15, 1.0
	v_mul_f32_e32 v18, v14, v37
	v_fma_f32 v38, -v19, v18, v14
	v_fmac_f32_e32 v18, v38, v37
	v_fma_f32 v14, -v19, v18, v14
	v_div_fmas_f32 v14, v14, v37, v18
	v_div_fixup_f32 v14, v14, v15, 1.0
	v_mul_f32_e32 v6, v6, v14
	v_add_f32_e32 v7, 1.0, v7
	v_mul_f32_e32 v6, v7, v6
	global_store_dword v[10:11], v6, off glc slc
.LBB5_113:                              ;   in Loop: Header=BB5_17 Depth=1
	s_or_b64 exec, exec, s[34:35]
	s_and_saveexec_b64 s[34:35], s[30:31]
	s_cbranch_execz .LBB5_119
; %bb.114:                              ;   in Loop: Header=BB5_17 Depth=1
	v_max_f32_e64 v6, s19, s19
	v_max_f32_e64 v7, -s19, -s19
	s_and_saveexec_b64 s[36:37], s[12:13]
	s_cbranch_execnz .LBB5_132
; %bb.115:                              ;   in Loop: Header=BB5_17 Depth=1
	s_or_b64 exec, exec, s[36:37]
	s_and_saveexec_b64 s[12:13], s[4:5]
	s_cbranch_execnz .LBB5_133
.LBB5_116:                              ;   in Loop: Header=BB5_17 Depth=1
	s_or_b64 exec, exec, s[12:13]
	s_and_saveexec_b64 s[4:5], s[8:9]
	s_cbranch_execnz .LBB5_134
.LBB5_117:                              ;   in Loop: Header=BB5_17 Depth=1
	s_or_b64 exec, exec, s[4:5]
	s_and_b64 exec, exec, s[14:15]
	s_cbranch_execz .LBB5_119
.LBB5_118:                              ;   in Loop: Header=BB5_17 Depth=1
	v_max_f32_e32 v8, v8, v8
	v_min_f32_e32 v8, v8, v6
	v_mul_f32_e32 v10, s18, v8
	v_mul_f32_e32 v10, 0xbfb8aa3b, v10
	v_exp_f32_e32 v12, v10
	v_max_f32_e32 v9, v9, v9
	v_add_co_u32_e32 v10, vcc, v22, v32
	v_add_f32_e32 v12, 1.0, v12
	v_div_scale_f32 v13, s[4:5], v12, v12, 1.0
	v_rcp_f32_e32 v14, v13
	v_max_f32_e32 v7, v9, v7
	v_addc_co_u32_e32 v11, vcc, v23, v33, vcc
	v_min_f32_e32 v6, v7, v6
	v_fma_f32 v7, -v13, v14, 1.0
	v_fmac_f32_e32 v14, v7, v14
	v_div_scale_f32 v7, vcc, 1.0, v12, 1.0
	v_mul_f32_e32 v9, v7, v14
	v_fma_f32 v15, -v13, v9, v7
	v_fmac_f32_e32 v9, v15, v14
	v_fma_f32 v7, -v13, v9, v7
	v_div_fmas_f32 v7, v7, v14, v9
	v_div_fixup_f32 v7, v7, v12, 1.0
	v_mul_f32_e32 v7, v8, v7
	v_add_f32_e32 v6, 1.0, v6
	v_mul_f32_e32 v6, v6, v7
	global_store_dword v[10:11], v6, off glc slc
.LBB5_119:                              ;   in Loop: Header=BB5_17 Depth=1
	s_or_b64 exec, exec, s[34:35]
                                        ; implicit-def: $vgpr22
                                        ; implicit-def: $vgpr6_vgpr7_vgpr8_vgpr9
                                        ; implicit-def: $vgpr23
                                        ; implicit-def: $vgpr10_vgpr11_vgpr12_vgpr13
                                        ; implicit-def: $vgpr24
                                        ; implicit-def: $vgpr14_vgpr15_vgpr16_vgpr17
                                        ; implicit-def: $vgpr25
                                        ; implicit-def: $vgpr18_vgpr19_vgpr20_vgpr21
.LBB5_120:                              ;   in Loop: Header=BB5_17 Depth=1
	s_andn2_saveexec_b64 s[4:5], s[16:17]
	s_cbranch_execz .LBB5_16
; %bb.121:                              ;   in Loop: Header=BB5_17 Depth=1
	v_cmp_gt_i32_e32 vcc, s27, v25
	s_and_saveexec_b64 s[8:9], vcc
	s_cbranch_execnz .LBB5_125
; %bb.122:                              ;   in Loop: Header=BB5_17 Depth=1
	s_or_b64 exec, exec, s[8:9]
	v_cmp_gt_i32_e32 vcc, s27, v24
	s_and_saveexec_b64 s[8:9], vcc
	s_cbranch_execnz .LBB5_126
.LBB5_123:                              ;   in Loop: Header=BB5_17 Depth=1
	s_or_b64 exec, exec, s[8:9]
	v_cmp_gt_i32_e32 vcc, s27, v23
	s_and_saveexec_b64 s[8:9], vcc
	s_cbranch_execnz .LBB5_127
.LBB5_124:                              ;   in Loop: Header=BB5_17 Depth=1
	s_or_b64 exec, exec, s[8:9]
	v_cmp_gt_i32_e32 vcc, s27, v22
	s_and_saveexec_b64 s[8:9], vcc
	s_cbranch_execz .LBB5_15
	s_branch .LBB5_128
.LBB5_125:                              ;   in Loop: Header=BB5_17 Depth=1
	v_max_f32_e32 v20, v20, v20
	v_max_f32_e64 v31, s45, s45
	v_min_f32_e32 v35, v20, v31
	v_max_f32_e32 v18, v18, v18
	v_max_f32_e64 v20, s44, s44
	v_min_f32_e32 v34, v18, v20
	v_mul_f32_e64 v18, v35, -s18
	v_mul_f32_e32 v18, 0x3fb8aa3b, v18
	v_exp_f32_e32 v37, v18
	v_max_f32_e64 v18, s43, s43
	v_max_f32_e32 v19, v19, v19
	v_max_f32_e32 v38, v19, v18
	v_mul_f32_e64 v18, v34, -s18
	v_mul_f32_e32 v18, 0x3fb8aa3b, v18
	v_exp_f32_e32 v36, v18
	v_max_f32_e64 v18, s25, s25
	v_max_f32_e32 v19, v21, v21
	v_max_f32_e32 v21, v19, v18
	v_pk_add_f32 v[18:19], v[36:37], 1.0 op_sel_hi:[1,0]
	v_div_scale_f32 v36, s[12:13], v19, v19, 1.0
	v_rcp_f32_e32 v37, v36
	v_min_f32_e32 v21, v21, v31
	v_min_f32_e32 v20, v38, v20
	v_pk_add_f32 v[20:21], v[20:21], 1.0 op_sel_hi:[1,0]
	v_fma_f32 v31, -v36, v37, 1.0
	v_fmac_f32_e32 v37, v31, v37
	v_div_scale_f32 v31, vcc, 1.0, v19, 1.0
	v_mul_f32_e32 v38, v31, v37
	v_fma_f32 v39, -v36, v38, v31
	v_fmac_f32_e32 v38, v39, v37
	v_fma_f32 v31, -v36, v38, v31
	v_div_scale_f32 v36, s[12:13], v18, v18, 1.0
	v_rcp_f32_e32 v39, v36
	v_div_fmas_f32 v31, v31, v37, v38
	v_div_fixup_f32 v19, v31, v19, 1.0
	v_fma_f32 v31, -v36, v39, 1.0
	v_fmac_f32_e32 v39, v31, v39
	v_div_scale_f32 v31, vcc, 1.0, v18, 1.0
	v_mul_f32_e32 v37, v31, v39
	v_fma_f32 v38, -v36, v37, v31
	v_fmac_f32_e32 v37, v38, v39
	v_fma_f32 v31, -v36, v37, v31
	v_div_fmas_f32 v31, v31, v39, v37
	v_div_fixup_f32 v18, v31, v18, 1.0
	v_pk_mul_f32 v[18:19], v[34:35], v[18:19]
	v_pk_mul_f32 v[18:19], v[20:21], v[18:19]
	v_mad_i64_i32 v[20:21], s[12:13], v25, s40, 0
	v_lshlrev_b64 v[20:21], 2, v[20:21]
	v_add_co_u32_e32 v20, vcc, v51, v20
	v_addc_co_u32_e32 v21, vcc, v52, v21, vcc
	global_store_dwordx2 v[20:21], v[18:19], off
	s_or_b64 exec, exec, s[8:9]
	v_cmp_gt_i32_e32 vcc, s27, v24
	s_and_saveexec_b64 s[8:9], vcc
	s_cbranch_execz .LBB5_123
.LBB5_126:                              ;   in Loop: Header=BB5_17 Depth=1
	v_max_f32_e32 v16, v16, v16
	v_max_f32_e64 v20, s45, s45
	v_min_f32_e32 v19, v16, v20
	v_max_f32_e32 v14, v14, v14
	v_max_f32_e64 v16, s44, s44
	v_min_f32_e32 v18, v14, v16
	v_mul_f32_e64 v14, v18, -s18
	v_max_f32_e32 v25, v15, v15
	v_mul_f32_e64 v15, v19, -s18
	v_mul_f32_e32 v14, 0x3fb8aa3b, v14
	v_mul_f32_e32 v15, 0x3fb8aa3b, v15
	v_exp_f32_e32 v14, v14
	v_exp_f32_e32 v15, v15
	v_max_f32_e64 v21, s43, s43
	v_max_f32_e32 v21, v25, v21
	v_max_f32_e64 v25, s25, s25
	v_pk_add_f32 v[14:15], v[14:15], 1.0 op_sel_hi:[1,0]
	v_div_scale_f32 v31, s[12:13], v15, v15, 1.0
	v_rcp_f32_e32 v34, v31
	v_max_f32_e32 v17, v17, v17
	v_max_f32_e32 v17, v17, v25
	v_min_f32_e32 v17, v17, v20
	v_fma_f32 v20, -v31, v34, 1.0
	v_fmac_f32_e32 v34, v20, v34
	v_div_scale_f32 v20, vcc, 1.0, v15, 1.0
	v_min_f32_e32 v16, v21, v16
	v_mul_f32_e32 v21, v20, v34
	v_fma_f32 v25, -v31, v21, v20
	v_fmac_f32_e32 v21, v25, v34
	v_div_scale_f32 v25, s[12:13], v14, v14, 1.0
	v_fma_f32 v20, -v31, v21, v20
	v_rcp_f32_e32 v31, v25
	v_div_fmas_f32 v20, v20, v34, v21
	v_div_fixup_f32 v15, v20, v15, 1.0
	v_pk_add_f32 v[16:17], v[16:17], 1.0 op_sel_hi:[1,0]
	v_fma_f32 v20, -v25, v31, 1.0
	v_fmac_f32_e32 v31, v20, v31
	v_div_scale_f32 v20, vcc, 1.0, v14, 1.0
	v_mul_f32_e32 v21, v20, v31
	v_fma_f32 v34, -v25, v21, v20
	v_fmac_f32_e32 v21, v34, v31
	v_fma_f32 v20, -v25, v21, v20
	v_div_fmas_f32 v20, v20, v31, v21
	v_div_fixup_f32 v14, v20, v14, 1.0
	v_pk_mul_f32 v[14:15], v[18:19], v[14:15]
	v_pk_mul_f32 v[14:15], v[16:17], v[14:15]
	v_mad_i64_i32 v[16:17], s[12:13], v24, s40, 0
	v_lshlrev_b64 v[16:17], 2, v[16:17]
	v_add_co_u32_e32 v16, vcc, v51, v16
	v_addc_co_u32_e32 v17, vcc, v52, v17, vcc
	global_store_dwordx2 v[16:17], v[14:15], off
	s_or_b64 exec, exec, s[8:9]
	v_cmp_gt_i32_e32 vcc, s27, v23
	s_and_saveexec_b64 s[8:9], vcc
	s_cbranch_execz .LBB5_124
.LBB5_127:                              ;   in Loop: Header=BB5_17 Depth=1
	v_max_f32_e32 v12, v12, v12
	v_max_f32_e64 v16, s45, s45
	v_min_f32_e32 v15, v12, v16
	v_max_f32_e32 v10, v10, v10
	v_max_f32_e64 v12, s44, s44
	v_min_f32_e32 v14, v10, v12
	v_mul_f32_e64 v10, v14, -s18
	v_max_f32_e32 v18, v11, v11
	v_mul_f32_e64 v11, v15, -s18
	v_mul_f32_e32 v10, 0x3fb8aa3b, v10
	v_mul_f32_e32 v11, 0x3fb8aa3b, v11
	v_exp_f32_e32 v10, v10
	v_exp_f32_e32 v11, v11
	v_max_f32_e64 v17, s43, s43
	v_max_f32_e32 v17, v18, v17
	v_max_f32_e64 v18, s25, s25
	v_pk_add_f32 v[10:11], v[10:11], 1.0 op_sel_hi:[1,0]
	v_div_scale_f32 v19, s[12:13], v11, v11, 1.0
	v_rcp_f32_e32 v20, v19
	v_max_f32_e32 v13, v13, v13
	v_max_f32_e32 v13, v13, v18
	v_min_f32_e32 v13, v13, v16
	v_fma_f32 v16, -v19, v20, 1.0
	v_fmac_f32_e32 v20, v16, v20
	v_div_scale_f32 v16, vcc, 1.0, v11, 1.0
	v_min_f32_e32 v12, v17, v12
	v_mul_f32_e32 v17, v16, v20
	v_fma_f32 v18, -v19, v17, v16
	v_fmac_f32_e32 v17, v18, v20
	v_div_scale_f32 v18, s[12:13], v10, v10, 1.0
	v_fma_f32 v16, -v19, v17, v16
	v_rcp_f32_e32 v19, v18
	v_div_fmas_f32 v16, v16, v20, v17
	v_div_fixup_f32 v11, v16, v11, 1.0
	v_pk_add_f32 v[12:13], v[12:13], 1.0 op_sel_hi:[1,0]
	v_fma_f32 v16, -v18, v19, 1.0
	v_fmac_f32_e32 v19, v16, v19
	v_div_scale_f32 v16, vcc, 1.0, v10, 1.0
	v_mul_f32_e32 v17, v16, v19
	v_fma_f32 v20, -v18, v17, v16
	v_fmac_f32_e32 v17, v20, v19
	v_fma_f32 v16, -v18, v17, v16
	v_div_fmas_f32 v16, v16, v19, v17
	v_div_fixup_f32 v10, v16, v10, 1.0
	v_pk_mul_f32 v[10:11], v[14:15], v[10:11]
	v_pk_mul_f32 v[10:11], v[12:13], v[10:11]
	v_mad_i64_i32 v[12:13], s[12:13], v23, s40, 0
	v_lshlrev_b64 v[12:13], 2, v[12:13]
	v_add_co_u32_e32 v12, vcc, v51, v12
	v_addc_co_u32_e32 v13, vcc, v52, v13, vcc
	global_store_dwordx2 v[12:13], v[10:11], off
	s_or_b64 exec, exec, s[8:9]
	v_cmp_gt_i32_e32 vcc, s27, v22
	s_and_saveexec_b64 s[8:9], vcc
	s_cbranch_execz .LBB5_15
.LBB5_128:                              ;   in Loop: Header=BB5_17 Depth=1
	v_max_f32_e32 v8, v8, v8
	v_max_f32_e64 v12, s45, s45
	v_min_f32_e32 v11, v8, v12
	v_max_f32_e32 v6, v6, v6
	v_max_f32_e64 v8, s44, s44
	v_min_f32_e32 v10, v6, v8
	v_mul_f32_e64 v6, v10, -s18
	v_max_f32_e32 v14, v7, v7
	v_mul_f32_e64 v7, v11, -s18
	v_mul_f32_e32 v6, 0x3fb8aa3b, v6
	v_mul_f32_e32 v7, 0x3fb8aa3b, v7
	v_exp_f32_e32 v6, v6
	v_exp_f32_e32 v7, v7
	v_max_f32_e64 v13, s43, s43
	v_max_f32_e32 v13, v14, v13
	v_max_f32_e64 v14, s25, s25
	v_pk_add_f32 v[6:7], v[6:7], 1.0 op_sel_hi:[1,0]
	v_div_scale_f32 v15, s[12:13], v7, v7, 1.0
	v_rcp_f32_e32 v16, v15
	v_max_f32_e32 v9, v9, v9
	v_max_f32_e32 v9, v9, v14
	v_min_f32_e32 v9, v9, v12
	v_fma_f32 v12, -v15, v16, 1.0
	v_fmac_f32_e32 v16, v12, v16
	v_div_scale_f32 v12, vcc, 1.0, v7, 1.0
	v_min_f32_e32 v8, v13, v8
	v_mul_f32_e32 v13, v12, v16
	v_fma_f32 v14, -v15, v13, v12
	v_fmac_f32_e32 v13, v14, v16
	v_div_scale_f32 v14, s[12:13], v6, v6, 1.0
	v_fma_f32 v12, -v15, v13, v12
	v_rcp_f32_e32 v15, v14
	v_div_fmas_f32 v12, v12, v16, v13
	v_div_fixup_f32 v7, v12, v7, 1.0
	v_pk_add_f32 v[8:9], v[8:9], 1.0 op_sel_hi:[1,0]
	v_fma_f32 v12, -v14, v15, 1.0
	v_fmac_f32_e32 v15, v12, v15
	v_div_scale_f32 v12, vcc, 1.0, v6, 1.0
	v_mul_f32_e32 v13, v12, v15
	v_fma_f32 v16, -v14, v13, v12
	v_fmac_f32_e32 v13, v16, v15
	v_fma_f32 v12, -v14, v13, v12
	v_div_fmas_f32 v12, v12, v15, v13
	v_div_fixup_f32 v6, v12, v6, 1.0
	v_pk_mul_f32 v[6:7], v[10:11], v[6:7]
	v_pk_mul_f32 v[6:7], v[8:9], v[6:7]
	v_mad_i64_i32 v[8:9], s[12:13], v22, s40, 0
	v_lshlrev_b64 v[8:9], 2, v[8:9]
	v_add_co_u32_e32 v8, vcc, v51, v8
	v_addc_co_u32_e32 v9, vcc, v52, v9, vcc
	global_store_dwordx2 v[8:9], v[6:7], off
	s_branch .LBB5_15
.LBB5_129:                              ;   in Loop: Header=BB5_17 Depth=1
	v_max_f32_e32 v18, v18, v18
	v_max_f32_e64 v37, s19, s19
	v_min_f32_e32 v18, v18, v37
	v_mul_f32_e32 v38, s18, v18
	v_mul_f32_e32 v38, 0xbfb8aa3b, v38
	v_exp_f32_e32 v40, v38
	v_max_f32_e64 v41, -s19, -s19
	v_max_f32_e32 v19, v19, v19
	v_add_co_u32_e32 v38, vcc, v35, v26
	v_add_f32_e32 v40, 1.0, v40
	v_div_scale_f32 v42, s[54:55], v40, v40, 1.0
	v_rcp_f32_e32 v43, v42
	v_max_f32_e32 v19, v19, v41
	v_addc_co_u32_e32 v39, vcc, v36, v27, vcc
	v_min_f32_e32 v19, v19, v37
	v_fma_f32 v37, -v42, v43, 1.0
	v_fmac_f32_e32 v43, v37, v43
	v_div_scale_f32 v37, vcc, 1.0, v40, 1.0
	v_mul_f32_e32 v41, v37, v43
	v_fma_f32 v56, -v42, v41, v37
	v_fmac_f32_e32 v41, v56, v43
	v_fma_f32 v37, -v42, v41, v37
	v_div_fmas_f32 v37, v37, v43, v41
	v_div_fixup_f32 v37, v37, v40, 1.0
	v_mul_f32_e32 v18, v18, v37
	v_add_f32_e32 v19, 1.0, v19
	v_mul_f32_e32 v18, v19, v18
	global_store_dword v[38:39], v18, off glc slc
	s_or_b64 exec, exec, s[36:37]
	s_and_saveexec_b64 s[36:37], s[4:5]
	s_cbranch_execz .LBB5_110
.LBB5_130:                              ;   in Loop: Header=BB5_17 Depth=1
	v_max_f32_e32 v14, v14, v14
	v_max_f32_e64 v37, s19, s19
	v_min_f32_e32 v14, v14, v37
	v_mul_f32_e32 v18, s18, v14
	v_mul_f32_e32 v18, 0xbfb8aa3b, v18
	v_exp_f32_e32 v38, v18
	v_max_f32_e64 v39, -s19, -s19
	v_max_f32_e32 v15, v15, v15
	v_add_co_u32_e32 v18, vcc, v31, v26
	v_add_f32_e32 v38, 1.0, v38
	v_div_scale_f32 v40, s[54:55], v38, v38, 1.0
	v_rcp_f32_e32 v41, v40
	v_max_f32_e32 v15, v15, v39
	v_addc_co_u32_e32 v19, vcc, v34, v27, vcc
	v_min_f32_e32 v15, v15, v37
	v_fma_f32 v37, -v40, v41, 1.0
	v_fmac_f32_e32 v41, v37, v41
	v_div_scale_f32 v37, vcc, 1.0, v38, 1.0
	v_mul_f32_e32 v39, v37, v41
	v_fma_f32 v42, -v40, v39, v37
	v_fmac_f32_e32 v39, v42, v41
	v_fma_f32 v37, -v40, v39, v37
	v_div_fmas_f32 v37, v37, v41, v39
	v_div_fixup_f32 v37, v37, v38, 1.0
	v_mul_f32_e32 v14, v14, v37
	v_add_f32_e32 v15, 1.0, v15
	v_mul_f32_e32 v14, v15, v14
	global_store_dword v[18:19], v14, off glc slc
	s_or_b64 exec, exec, s[36:37]
	s_and_saveexec_b64 s[36:37], s[8:9]
	s_cbranch_execz .LBB5_111
.LBB5_131:                              ;   in Loop: Header=BB5_17 Depth=1
	v_max_f32_e32 v10, v10, v10
	v_max_f32_e64 v18, s19, s19
	v_min_f32_e32 v10, v10, v18
	v_mul_f32_e32 v14, s18, v10
	v_mul_f32_e32 v14, 0xbfb8aa3b, v14
	v_exp_f32_e32 v19, v14
	v_max_f32_e64 v37, -s19, -s19
	v_max_f32_e32 v11, v11, v11
	v_add_co_u32_e32 v14, vcc, v24, v26
	v_add_f32_e32 v19, 1.0, v19
	v_div_scale_f32 v38, s[54:55], v19, v19, 1.0
	v_rcp_f32_e32 v39, v38
	v_max_f32_e32 v11, v11, v37
	v_addc_co_u32_e32 v15, vcc, v25, v27, vcc
	v_min_f32_e32 v11, v11, v18
	v_fma_f32 v18, -v38, v39, 1.0
	v_fmac_f32_e32 v39, v18, v39
	v_div_scale_f32 v18, vcc, 1.0, v19, 1.0
	v_mul_f32_e32 v37, v18, v39
	v_fma_f32 v40, -v38, v37, v18
	v_fmac_f32_e32 v37, v40, v39
	v_fma_f32 v18, -v38, v37, v18
	v_div_fmas_f32 v18, v18, v39, v37
	v_div_fixup_f32 v18, v18, v19, 1.0
	v_mul_f32_e32 v10, v10, v18
	v_add_f32_e32 v11, 1.0, v11
	v_mul_f32_e32 v10, v11, v10
	global_store_dword v[14:15], v10, off glc slc
	s_or_b64 exec, exec, s[36:37]
	s_and_b64 exec, exec, s[14:15]
	s_cbranch_execnz .LBB5_112
	s_branch .LBB5_113
.LBB5_132:                              ;   in Loop: Header=BB5_17 Depth=1
	v_max_f32_e32 v10, v20, v20
	v_min_f32_e32 v14, v10, v6
	v_mul_f32_e32 v10, s18, v14
	v_mul_f32_e32 v10, 0xbfb8aa3b, v10
	v_exp_f32_e32 v15, v10
	v_add_co_u32_e32 v10, vcc, v35, v32
	v_addc_co_u32_e32 v11, vcc, v36, v33, vcc
	v_add_f32_e32 v15, 1.0, v15
	v_div_scale_f32 v18, s[12:13], v15, v15, 1.0
	v_rcp_f32_e32 v19, v18
	v_max_f32_e32 v20, v21, v21
	v_max_f32_e32 v20, v20, v7
	v_min_f32_e32 v20, v20, v6
	v_fma_f32 v21, -v18, v19, 1.0
	v_fmac_f32_e32 v19, v21, v19
	v_div_scale_f32 v21, vcc, 1.0, v15, 1.0
	v_mul_f32_e32 v35, v21, v19
	v_fma_f32 v36, -v18, v35, v21
	v_fmac_f32_e32 v35, v36, v19
	v_fma_f32 v18, -v18, v35, v21
	v_div_fmas_f32 v18, v18, v19, v35
	v_div_fixup_f32 v15, v18, v15, 1.0
	v_mul_f32_e32 v14, v14, v15
	v_add_f32_e32 v15, 1.0, v20
	v_mul_f32_e32 v14, v15, v14
	global_store_dword v[10:11], v14, off glc slc
	s_or_b64 exec, exec, s[36:37]
	s_and_saveexec_b64 s[12:13], s[4:5]
	s_cbranch_execz .LBB5_116
.LBB5_133:                              ;   in Loop: Header=BB5_17 Depth=1
	v_max_f32_e32 v10, v16, v16
	v_min_f32_e32 v14, v10, v6
	v_mul_f32_e32 v10, s18, v14
	v_mul_f32_e32 v10, 0xbfb8aa3b, v10
	v_exp_f32_e32 v15, v10
	v_add_co_u32_e32 v10, vcc, v31, v32
	v_addc_co_u32_e32 v11, vcc, v34, v33, vcc
	v_add_f32_e32 v15, 1.0, v15
	v_div_scale_f32 v16, s[4:5], v15, v15, 1.0
	v_rcp_f32_e32 v18, v16
	v_max_f32_e32 v17, v17, v17
	v_max_f32_e32 v17, v17, v7
	v_min_f32_e32 v17, v17, v6
	v_fma_f32 v19, -v16, v18, 1.0
	v_fmac_f32_e32 v18, v19, v18
	v_div_scale_f32 v19, vcc, 1.0, v15, 1.0
	v_mul_f32_e32 v20, v19, v18
	v_fma_f32 v21, -v16, v20, v19
	v_fmac_f32_e32 v20, v21, v18
	v_fma_f32 v16, -v16, v20, v19
	v_div_fmas_f32 v16, v16, v18, v20
	v_div_fixup_f32 v15, v16, v15, 1.0
	v_mul_f32_e32 v14, v14, v15
	v_add_f32_e32 v15, 1.0, v17
	v_mul_f32_e32 v14, v15, v14
	global_store_dword v[10:11], v14, off glc slc
	s_or_b64 exec, exec, s[12:13]
	s_and_saveexec_b64 s[4:5], s[8:9]
	s_cbranch_execz .LBB5_117
.LBB5_134:                              ;   in Loop: Header=BB5_17 Depth=1
	v_max_f32_e32 v10, v12, v12
	v_min_f32_e32 v12, v10, v6
	v_mul_f32_e32 v10, s18, v12
	v_mul_f32_e32 v10, 0xbfb8aa3b, v10
	v_exp_f32_e32 v14, v10
	v_add_co_u32_e32 v10, vcc, v24, v32
	v_addc_co_u32_e32 v11, vcc, v25, v33, vcc
	v_add_f32_e32 v14, 1.0, v14
	v_div_scale_f32 v15, s[8:9], v14, v14, 1.0
	v_rcp_f32_e32 v16, v15
	v_max_f32_e32 v13, v13, v13
	v_max_f32_e32 v13, v13, v7
	v_min_f32_e32 v13, v13, v6
	v_fma_f32 v17, -v15, v16, 1.0
	v_fmac_f32_e32 v16, v17, v16
	v_div_scale_f32 v17, vcc, 1.0, v14, 1.0
	v_mul_f32_e32 v18, v17, v16
	v_fma_f32 v19, -v15, v18, v17
	v_fmac_f32_e32 v18, v19, v16
	v_fma_f32 v15, -v15, v18, v17
	v_div_fmas_f32 v15, v15, v16, v18
	v_div_fixup_f32 v14, v15, v14, 1.0
	v_mul_f32_e32 v12, v12, v14
	v_add_f32_e32 v13, 1.0, v13
	v_mul_f32_e32 v12, v13, v12
	global_store_dword v[10:11], v12, off glc slc
	s_or_b64 exec, exec, s[4:5]
	s_and_b64 exec, exec, s[14:15]
	s_cbranch_execnz .LBB5_118
	s_branch .LBB5_119
.LBB5_135:
	s_endpgm
	.section	.rodata,"a",@progbits
	.p2align	6, 0x0
	.amdhsa_kernel _Z27moe_mlp1_swiglu_mfma_kernelPKiiiPKfPfPK14__hip_bfloat16S6_iixxff
		.amdhsa_group_segment_fixed_size 17408
		.amdhsa_private_segment_fixed_size 0
		.amdhsa_kernarg_size 336
		.amdhsa_user_sgpr_count 6
		.amdhsa_user_sgpr_private_segment_buffer 1
		.amdhsa_user_sgpr_dispatch_ptr 0
		.amdhsa_user_sgpr_queue_ptr 0
		.amdhsa_user_sgpr_kernarg_segment_ptr 1
		.amdhsa_user_sgpr_dispatch_id 0
		.amdhsa_user_sgpr_flat_scratch_init 0
		.amdhsa_user_sgpr_kernarg_preload_length 0
		.amdhsa_user_sgpr_kernarg_preload_offset 0
		.amdhsa_user_sgpr_private_segment_size 0
		.amdhsa_uses_dynamic_stack 0
		.amdhsa_system_sgpr_private_segment_wavefront_offset 0
		.amdhsa_system_sgpr_workgroup_id_x 1
		.amdhsa_system_sgpr_workgroup_id_y 1
		.amdhsa_system_sgpr_workgroup_id_z 1
		.amdhsa_system_sgpr_workgroup_info 0
		.amdhsa_system_vgpr_workitem_id 0
		.amdhsa_next_free_vgpr 70
		.amdhsa_next_free_sgpr 56
		.amdhsa_accum_offset 72
		.amdhsa_reserve_vcc 1
		.amdhsa_reserve_flat_scratch 0
		.amdhsa_float_round_mode_32 0
		.amdhsa_float_round_mode_16_64 0
		.amdhsa_float_denorm_mode_32 3
		.amdhsa_float_denorm_mode_16_64 3
		.amdhsa_dx10_clamp 1
		.amdhsa_ieee_mode 1
		.amdhsa_fp16_overflow 0
		.amdhsa_tg_split 0
		.amdhsa_exception_fp_ieee_invalid_op 0
		.amdhsa_exception_fp_denorm_src 0
		.amdhsa_exception_fp_ieee_div_zero 0
		.amdhsa_exception_fp_ieee_overflow 0
		.amdhsa_exception_fp_ieee_underflow 0
		.amdhsa_exception_fp_ieee_inexact 0
		.amdhsa_exception_int_div_zero 0
	.end_amdhsa_kernel
	.text
.Lfunc_end5:
	.size	_Z27moe_mlp1_swiglu_mfma_kernelPKiiiPKfPfPK14__hip_bfloat16S6_iixxff, .Lfunc_end5-_Z27moe_mlp1_swiglu_mfma_kernelPKiiiPKfPfPK14__hip_bfloat16S6_iixxff
                                        ; -- End function
	.section	.AMDGPU.csdata,"",@progbits
; Kernel info:
; codeLenInByte = 6208
; NumSgprs: 60
; NumVgprs: 70
; NumAgprs: 0
; TotalNumVgprs: 70
; ScratchSize: 0
; MemoryBound: 0
; FloatMode: 240
; IeeeMode: 1
; LDSByteSize: 17408 bytes/workgroup (compile time only)
; SGPRBlocks: 7
; VGPRBlocks: 8
; NumSGPRsForWavesPerEU: 60
; NumVGPRsForWavesPerEU: 70
; AccumOffset: 72
; Occupancy: 7
; WaveLimiterHint : 1
; COMPUTE_PGM_RSRC2:SCRATCH_EN: 0
; COMPUTE_PGM_RSRC2:USER_SGPR: 6
; COMPUTE_PGM_RSRC2:TRAP_HANDLER: 0
; COMPUTE_PGM_RSRC2:TGID_X_EN: 1
; COMPUTE_PGM_RSRC2:TGID_Y_EN: 1
; COMPUTE_PGM_RSRC2:TGID_Z_EN: 1
; COMPUTE_PGM_RSRC2:TIDIG_COMP_CNT: 0
; COMPUTE_PGM_RSRC3_GFX90A:ACCUM_OFFSET: 17
; COMPUTE_PGM_RSRC3_GFX90A:TG_SPLIT: 0
	.text
	.protected	_Z28moe_mlp2_scatter_mfma_kernelPKiiiPKfS0_S2_PfPK14__hip_bfloat16S6_iixx ; -- Begin function _Z28moe_mlp2_scatter_mfma_kernelPKiiiPKfS0_S2_PfPK14__hip_bfloat16S6_iixx
	.globl	_Z28moe_mlp2_scatter_mfma_kernelPKiiiPKfS0_S2_PfPK14__hip_bfloat16S6_iixx
	.p2align	8
	.type	_Z28moe_mlp2_scatter_mfma_kernelPKiiiPKfS0_S2_PfPK14__hip_bfloat16S6_iixx,@function
_Z28moe_mlp2_scatter_mfma_kernelPKiiiPKfS0_S2_PfPK14__hip_bfloat16S6_iixx: ; @_Z28moe_mlp2_scatter_mfma_kernelPKiiiPKfS0_S2_PfPK14__hip_bfloat16S6_iixx
; %bb.0:
	s_load_dwordx2 s[0:1], s[4:5], 0x8
	s_waitcnt lgkmcnt(0)
	s_cmp_ge_i32 s8, s1
	s_cbranch_scc1 .LBB6_192
; %bb.1:
	s_load_dwordx2 s[2:3], s[4:5], 0x0
	s_load_dwordx2 s[22:23], s[4:5], 0x40
	s_add_i32 s0, s8, s0
	s_mul_i32 s0, s0, 3
	s_ashr_i32 s1, s0, 31
	s_lshl_b64 s[0:1], s[0:1], 2
	s_waitcnt lgkmcnt(0)
	s_add_u32 s2, s2, s0
	s_addc_u32 s3, s3, s1
	s_load_dwordx2 s[34:35], s[2:3], 0x4
	s_cmp_eq_u32 s23, 0
	s_cselect_b64 s[0:1], -1, 0
	s_waitcnt lgkmcnt(0)
	s_cmp_eq_u32 s35, 0
	s_cselect_b64 s[8:9], -1, 0
	s_or_b64 s[0:1], s[0:1], s[8:9]
	s_cmp_eq_u32 s22, 0
	s_cselect_b64 s[8:9], -1, 0
	s_or_b64 s[0:1], s[8:9], s[0:1]
	s_and_b64 vcc, exec, s[0:1]
	s_cbranch_vccnz .LBB6_192
; %bb.2:
	s_load_dword s16, s[2:3], 0x0
	s_load_dwordx2 s[0:1], s[4:5], 0x38
	s_load_dwordx4 s[12:15], s[4:5], 0x48
	s_mov_b64 s[8:9], 0
	s_waitcnt lgkmcnt(0)
	s_ashr_i32 s17, s16, 31
	s_cmp_eq_u64 s[0:1], 0
	s_cbranch_scc1 .LBB6_4
; %bb.3:
	s_mul_i32 s2, s16, s15
	s_mul_hi_u32 s3, s16, s14
	s_add_i32 s2, s3, s2
	s_mul_i32 s3, s17, s14
	s_add_i32 s3, s2, s3
	s_mul_i32 s2, s16, s14
	s_lshl_b64 s[2:3], s[2:3], 1
	s_add_u32 s8, s0, s2
	s_addc_u32 s9, s1, s3
.LBB6_4:
	s_lshl_b32 s38, s7, 8
	s_cmp_lt_i32 s38, s23
	s_cselect_b64 s[0:1], -1, 0
	s_lshl_b32 s39, s6, 6
	s_cmp_lt_i32 s39, s35
	s_cselect_b64 s[2:3], -1, 0
	s_and_b64 s[0:1], s[0:1], s[2:3]
	s_andn2_b64 vcc, exec, s[0:1]
	s_cbranch_vccnz .LBB6_192
; %bb.5:
	v_lshrrev_b32_e32 v2, 2, v0
	v_and_b32_e32 v1, 0xf0, v2
	v_or_b32_e32 v6, s38, v1
	v_and_b32_e32 v48, 12, v2
	s_mov_b32 s24, 0
	v_or_b32_e32 v26, v6, v48
	s_cmp_lg_u64 s[8:9], 0
	s_mov_b32 s25, s24
	s_cselect_b64 s[10:11], -1, 0
	v_cmp_gt_i32_e64 s[0:1], s23, v26
	s_mov_b32 s26, s24
	s_mov_b32 s27, s24
	v_pk_mov_b32 v[2:3], s[24:25], s[24:25] op_sel:[0,1]
	s_and_b64 s[14:15], s[10:11], s[0:1]
	v_pk_mov_b32 v[4:5], s[26:27], s[26:27] op_sel:[0,1]
	s_and_saveexec_b64 s[2:3], s[14:15]
	s_cbranch_execz .LBB6_7
; %bb.6:
	v_ashrrev_i32_e32 v27, 31, v26
	v_lshlrev_b64 v[2:3], 1, v[26:27]
	v_mov_b32_e32 v4, s9
	v_add_co_u32_e32 v2, vcc, s8, v2
	v_addc_co_u32_e32 v3, vcc, v4, v3, vcc
	flat_load_ushort v2, v[2:3]
	v_mov_b32_e32 v3, 0
	v_mov_b32_e32 v4, v3
	;; [unrolled: 1-line block ×3, first 2 shown]
	s_waitcnt vmcnt(0) lgkmcnt(0)
	v_lshlrev_b32_e32 v2, 16, v2
.LBB6_7:
	s_or_b64 exec, exec, s[2:3]
	v_or_b32_e32 v7, 1, v26
	v_cmp_gt_i32_e64 s[2:3], s23, v7
	s_and_b64 s[18:19], s[10:11], s[2:3]
	s_and_saveexec_b64 s[14:15], s[18:19]
	s_cbranch_execz .LBB6_9
; %bb.8:
	v_ashrrev_i32_e32 v27, 31, v26
	v_lshlrev_b64 v[8:9], 1, v[26:27]
	v_mov_b32_e32 v3, s9
	v_add_co_u32_e32 v8, vcc, s8, v8
	v_addc_co_u32_e32 v9, vcc, v3, v9, vcc
	flat_load_ushort v3, v[8:9] offset:2
	s_waitcnt vmcnt(0) lgkmcnt(0)
	v_lshlrev_b32_e32 v3, 16, v3
.LBB6_9:
	s_or_b64 exec, exec, s[14:15]
	v_or_b32_e32 v7, 2, v26
	v_cmp_gt_i32_e64 s[18:19], s23, v7
	s_and_b64 s[20:21], s[10:11], s[18:19]
	s_and_saveexec_b64 s[14:15], s[20:21]
	s_cbranch_execz .LBB6_11
; %bb.10:
	v_ashrrev_i32_e32 v27, 31, v26
	v_lshlrev_b64 v[8:9], 1, v[26:27]
	v_mov_b32_e32 v4, s9
	v_add_co_u32_e32 v8, vcc, s8, v8
	v_addc_co_u32_e32 v9, vcc, v4, v9, vcc
	flat_load_ushort v4, v[8:9] offset:4
	s_waitcnt vmcnt(0) lgkmcnt(0)
	v_lshlrev_b32_e32 v4, 16, v4
.LBB6_11:
	s_or_b64 exec, exec, s[14:15]
	v_or_b32_e32 v7, 3, v26
	v_cmp_gt_i32_e32 vcc, s23, v7
	v_cmp_le_i32_e64 s[20:21], s23, v7
	s_and_b64 s[14:15], s[10:11], vcc
	s_and_saveexec_b64 s[10:11], s[14:15]
	s_cbranch_execz .LBB6_13
; %bb.12:
	v_ashrrev_i32_e32 v27, 31, v26
	v_lshlrev_b64 v[8:9], 1, v[26:27]
	v_mov_b32_e32 v5, s9
	v_add_co_u32_e32 v8, vcc, s8, v8
	v_addc_co_u32_e32 v9, vcc, v5, v9, vcc
	flat_load_ushort v5, v[8:9] offset:6
	s_waitcnt vmcnt(0) lgkmcnt(0)
	v_lshlrev_b32_e32 v5, 16, v5
.LBB6_13:
	s_or_b64 exec, exec, s[10:11]
	s_add_i32 s7, s35, 63
	s_ashr_i32 s8, s7, 31
	s_lshr_b32 s8, s8, 26
	s_add_i32 s7, s7, s8
	s_ashr_i32 s7, s7, 6
	s_add_i32 s8, s35, -1
	s_cmp_lt_u32 s8, 0xffffff81
	s_cselect_b64 s[8:9], -1, 0
	s_cmp_lt_i32 s6, s7
	s_cselect_b64 s[10:11], -1, 0
	s_and_b64 s[8:9], s[8:9], s[10:11]
	s_and_b64 vcc, exec, s[8:9]
	s_cbranch_vccz .LBB6_192
; %bb.14:
	s_load_dwordx8 s[24:31], s[4:5], 0x10
	s_add_i32 s8, s22, 63
	s_ashr_i32 s9, s8, 31
	s_lshr_b32 s9, s9, 26
	s_add_i32 s8, s8, s9
	s_mul_hi_i32 s11, s34, s22
	s_mul_i32 s10, s34, s22
	s_ashr_i32 s33, s8, 6
	s_ashr_i32 s9, s34, 31
	;; [unrolled: 1-line block ×3, first 2 shown]
	s_lshl_b64 s[10:11], s[10:11], 2
	s_mov_b32 s8, s34
	s_waitcnt lgkmcnt(0)
	s_add_u32 s10, s24, s10
	s_addc_u32 s11, s25, s11
	s_lshl_b64 s[36:37], s[8:9], 2
	s_add_u32 s34, s26, s36
	s_addc_u32 s44, s27, s37
	s_add_u32 s45, s28, s36
	s_addc_u32 s46, s29, s37
	s_cmp_gt_i32 s22, 0
	s_cselect_b64 s[26:27], -1, 0
	s_load_dwordx2 s[14:15], s[4:5], 0x30
	s_load_dword s47, s[4:5], 0x58
	s_max_i32 s4, s33, 1
	s_add_u32 s48, s34, 64
	s_addc_u32 s49, s44, 0
	s_add_u32 s50, s45, 64
	s_addc_u32 s51, s46, 0
	s_add_u32 s52, s34, 0x80
	v_lshlrev_b32_e32 v7, 2, v0
	s_addc_u32 s53, s44, 0
	v_and_b32_e32 v7, 60, v7
	s_add_u32 s54, s45, 0x80
	v_and_b32_e32 v49, 15, v0
	v_lshlrev_b32_e32 v8, 2, v7
	s_addc_u32 s55, s46, 0
	v_lshrrev_b32_e32 v50, 4, v0
	v_mov_b32_e32 v9, s11
	v_add_co_u32_e32 v51, vcc, s10, v8
	s_movk_i32 s10, 0x44
	v_or_b32_e32 v6, v6, v49
	s_add_u32 s56, s34, 0xc0
	v_addc_co_u32_e32 v52, vcc, 0, v9, vcc
	v_mad_u32_u24 v53, v50, s10, v7
	v_cmp_gt_i32_e64 s[10:11], s23, v6
	s_addc_u32 s57, s44, 0
	v_lshlrev_b32_e32 v6, 4, v49
	s_add_u32 s58, s45, 0xc0
	v_mov_b32_e32 v8, s25
	v_add_co_u32_e32 v6, vcc, s24, v6
	s_addc_u32 s59, s46, 0
	s_lshl_b32 s60, s4, 6
	v_addc_co_u32_e32 v8, vcc, 0, v8, vcc
	s_movk_i32 s4, 0x100
	v_add_co_u32_e32 v28, vcc, s4, v6
	s_mul_i32 s4, s12, s17
	s_mul_hi_u32 s5, s12, s16
	s_add_i32 s4, s5, s4
	s_mul_i32 s5, s13, s16
	v_add3_u32 v1, s38, v1, v49
	v_cmp_gt_i32_e64 s[8:9], s22, v7
	v_or_b32_e32 v56, 64, v7
	s_add_i32 s5, s4, s5
	s_mul_i32 s4, s12, s16
	v_mad_i64_i32 v[6:7], s[12:13], s22, v1, 0
	v_addc_co_u32_e32 v29, vcc, 0, v8, vcc
	s_lshl_b64 s[4:5], s[4:5], 1
	v_lshlrev_b64 v[6:7], 1, v[6:7]
	v_mov_b32_e32 v1, s5
	v_add_co_u32_e32 v6, vcc, s4, v6
	v_lshrrev_b32_e32 v0, 1, v0
	v_addc_co_u32_e32 v1, vcc, v1, v7, vcc
	v_and_b32_e32 v0, 24, v0
	v_add_co_u32_e32 v0, vcc, v6, v0
	v_addc_co_u32_e32 v1, vcc, 0, v1, vcc
	s_waitcnt lgkmcnt(0)
	v_mov_b32_e32 v6, s15
	v_add_co_u32_e32 v0, vcc, s14, v0
	v_addc_co_u32_e32 v1, vcc, v1, v6, vcc
	s_movk_i32 s4, 0x64
	v_add_co_u32_e32 v0, vcc, s4, v0
	s_mov_b32 s43, s22
	v_lshlrev_b32_e32 v54, 1, v53
	v_ashrrev_i32_e32 v27, 31, v26
	v_mul_u32_u24_e32 v55, 0x88, v49
	v_add_u32_e32 v30, s39, v50
	s_lshl_b32 s61, s47, 6
	v_addc_co_u32_e32 v1, vcc, 0, v1, vcc
	s_mov_b32 s62, 0x7f800000
	s_movk_i32 s63, 0x7fff
	s_mov_b32 s64, 0xffff
	s_mov_b32 s65, 0x7060302
	;; [unrolled: 1-line block ×3, first 2 shown]
	v_mov_b32_e32 v57, 0
	s_branch .LBB6_17
.LBB6_15:                               ;   in Loop: Header=BB6_17 Depth=1
	s_or_b64 exec, exec, s[12:13]
.LBB6_16:                               ;   in Loop: Header=BB6_17 Depth=1
	s_or_b64 exec, exec, s[4:5]
	s_add_i32 s6, s47, s6
	s_cmp_lt_i32 s6, s7
	v_add_u32_e32 v30, s61, v30
	s_barrier
	s_cbranch_scc0 .LBB6_192
.LBB6_17:                               ; =>This Loop Header: Depth=1
                                        ;     Child Loop BB6_39 Depth 2
                                        ;     Child Loop BB6_118 Depth 2
	;; [unrolled: 1-line block ×29, first 2 shown]
	s_lshl_b32 s24, s6, 6
	v_or_b32_e32 v8, s24, v50
	v_cmp_gt_i32_e64 s[12:13], s35, v8
	s_and_b64 s[14:15], s[12:13], s[8:9]
	v_mov_b32_e32 v7, 0
	v_mov_b32_e32 v6, 0
	s_and_saveexec_b64 s[4:5], s[14:15]
	s_cbranch_execz .LBB6_35
; %bb.18:                               ;   in Loop: Header=BB6_17 Depth=1
	v_mad_i64_i32 v[6:7], s[14:15], v8, s43, 0
	v_lshlrev_b64 v[6:7], 2, v[6:7]
	v_add_co_u32_e32 v6, vcc, v51, v6
	v_addc_co_u32_e32 v7, vcc, v52, v7, vcc
	global_load_dwordx4 v[6:9], v[6:7], off
	s_waitcnt vmcnt(0)
	v_and_b32_e32 v10, 0x7f800000, v6
	v_cmp_ne_u32_e32 vcc, s62, v10
                                        ; implicit-def: $vgpr10
	s_and_saveexec_b64 s[14:15], vcc
	s_xor_b64 s[14:15], exec, s[14:15]
; %bb.19:                               ;   in Loop: Header=BB6_17 Depth=1
	v_bfe_u32 v10, v6, 16, 1
	v_add3_u32 v10, v6, v10, s63
; %bb.20:                               ;   in Loop: Header=BB6_17 Depth=1
	s_andn2_saveexec_b64 s[14:15], s[14:15]
; %bb.21:                               ;   in Loop: Header=BB6_17 Depth=1
	v_or_b32_e32 v10, 0x10000, v6
	v_cmp_eq_u32_sdwa vcc, v6, v57 src0_sel:WORD_0 src1_sel:DWORD
	v_cndmask_b32_e32 v10, v10, v6, vcc
; %bb.22:                               ;   in Loop: Header=BB6_17 Depth=1
	s_or_b64 exec, exec, s[14:15]
	v_and_b32_e32 v6, 0x7f800000, v7
	v_cmp_ne_u32_e32 vcc, s62, v6
                                        ; implicit-def: $vgpr11
	s_and_saveexec_b64 s[14:15], vcc
	s_xor_b64 s[14:15], exec, s[14:15]
; %bb.23:                               ;   in Loop: Header=BB6_17 Depth=1
	v_bfe_u32 v6, v7, 16, 1
	v_add3_u32 v11, v7, v6, s63
; %bb.24:                               ;   in Loop: Header=BB6_17 Depth=1
	s_andn2_saveexec_b64 s[14:15], s[14:15]
; %bb.25:                               ;   in Loop: Header=BB6_17 Depth=1
	v_or_b32_e32 v6, 0x10000, v7
	v_cmp_eq_u32_sdwa vcc, v7, v57 src0_sel:WORD_0 src1_sel:DWORD
	v_cndmask_b32_e32 v11, v6, v7, vcc
; %bb.26:                               ;   in Loop: Header=BB6_17 Depth=1
	s_or_b64 exec, exec, s[14:15]
	v_and_b32_e32 v6, 0x7f800000, v8
	v_cmp_ne_u32_e32 vcc, s62, v6
                                        ; implicit-def: $vgpr12
	s_and_saveexec_b64 s[14:15], vcc
	s_xor_b64 s[14:15], exec, s[14:15]
; %bb.27:                               ;   in Loop: Header=BB6_17 Depth=1
	v_bfe_u32 v6, v8, 16, 1
	v_add3_u32 v12, v8, v6, s63
; %bb.28:                               ;   in Loop: Header=BB6_17 Depth=1
	s_andn2_saveexec_b64 s[14:15], s[14:15]
; %bb.29:                               ;   in Loop: Header=BB6_17 Depth=1
	v_or_b32_e32 v6, 0x10000, v8
	v_cmp_eq_u32_sdwa vcc, v8, v57 src0_sel:WORD_0 src1_sel:DWORD
	v_cndmask_b32_e32 v12, v6, v8, vcc
; %bb.30:                               ;   in Loop: Header=BB6_17 Depth=1
	s_or_b64 exec, exec, s[14:15]
	v_and_b32_e32 v6, 0x7f800000, v9
	v_cmp_ne_u32_e32 vcc, s62, v6
                                        ; implicit-def: $vgpr13
	s_and_saveexec_b64 s[14:15], vcc
	s_xor_b64 s[14:15], exec, s[14:15]
; %bb.31:                               ;   in Loop: Header=BB6_17 Depth=1
	v_bfe_u32 v6, v9, 16, 1
	v_add3_u32 v13, v9, v6, s63
                                        ; implicit-def: $vgpr6_vgpr7_vgpr8_vgpr9
; %bb.32:                               ;   in Loop: Header=BB6_17 Depth=1
	s_andn2_saveexec_b64 s[14:15], s[14:15]
; %bb.33:                               ;   in Loop: Header=BB6_17 Depth=1
	v_or_b32_e32 v6, 0x10000, v9
	v_cmp_eq_u32_sdwa vcc, v9, v57 src0_sel:WORD_0 src1_sel:DWORD
	v_cndmask_b32_e32 v13, v6, v9, vcc
; %bb.34:                               ;   in Loop: Header=BB6_17 Depth=1
	s_or_b64 exec, exec, s[14:15]
	v_perm_b32 v6, v11, v10, s65
	v_perm_b32 v7, v13, v12, s65
.LBB6_35:                               ;   in Loop: Header=BB6_17 Depth=1
	s_or_b64 exec, exec, s[4:5]
	ds_write_b64 v54, v[6:7]
	v_pk_mov_b32 v[20:21], v[4:5], v[4:5] op_sel:[0,1]
	v_pk_mov_b32 v[16:17], v[4:5], v[4:5] op_sel:[0,1]
	;; [unrolled: 1-line block ×4, first 2 shown]
	s_andn2_b64 vcc, exec, s[26:27]
	v_pk_mov_b32 v[18:19], v[2:3], v[2:3] op_sel:[0,1]
	v_pk_mov_b32 v[14:15], v[2:3], v[2:3] op_sel:[0,1]
	;; [unrolled: 1-line block ×4, first 2 shown]
	s_waitcnt lgkmcnt(0)
	s_barrier
	s_cbranch_vccnz .LBB6_106
; %bb.36:                               ;   in Loop: Header=BB6_17 Depth=1
	v_ashrrev_i32_e32 v31, 31, v30
	v_lshlrev_b64 v[6:7], 2, v[30:31]
	v_mov_b32_e32 v8, s37
	v_add_co_u32_e32 v6, vcc, s36, v6
	v_addc_co_u32_e32 v7, vcc, v8, v7, vcc
	v_mul_lo_u32 v7, s43, v7
	v_mul_lo_u32 v8, s42, v6
	s_waitcnt vmcnt(0)
	v_mad_u64_u32 v[32:33], s[4:5], s43, v6, v[28:29]
	v_add3_u32 v33, v8, v33, v7
	v_pk_mov_b32 v[20:21], v[4:5], v[4:5] op_sel:[0,1]
	v_pk_mov_b32 v[16:17], v[4:5], v[4:5] op_sel:[0,1]
	;; [unrolled: 1-line block ×4, first 2 shown]
	s_mov_b32 s25, 0
	s_mov_b32 s28, 1
	v_pk_mov_b32 v[34:35], v[0:1], v[0:1] op_sel:[0,1]
	v_pk_mov_b32 v[18:19], v[2:3], v[2:3] op_sel:[0,1]
	;; [unrolled: 1-line block ×5, first 2 shown]
	s_branch .LBB6_39
.LBB6_37:                               ;   in Loop: Header=BB6_39 Depth=2
	s_or_b64 exec, exec, s[14:15]
.LBB6_38:                               ;   in Loop: Header=BB6_39 Depth=2
	s_or_b64 exec, exec, s[4:5]
	s_nop 3
	ds_read2_b64 v[22:25], v42 offset0:8 offset1:12
	v_add_co_u32_e32 v32, vcc, 0x100, v32
	v_addc_co_u32_e32 v33, vcc, 0, v33, vcc
	s_waitcnt vmcnt(0) lgkmcnt(0)
	v_mfma_f32_16x16x16bf16_1k v[18:21], v[40:41], v[22:23], v[18:21]
	v_add_u32_e32 v22, 0x880, v42
	ds_read2_b64 v[44:47], v22 offset0:8 offset1:12
	v_add_u32_e32 v22, 0x1100, v42
	ds_read2_b64 v[58:61], v22 offset0:8 offset1:12
	v_add_u32_e32 v22, 0x1980, v42
	s_add_i32 s25, s25, 64
	s_add_i32 s28, s28, 1
	s_waitcnt lgkmcnt(1)
	v_mfma_f32_16x16x16bf16_1k v[14:17], v[40:41], v[44:45], v[14:17]
	ds_read2_b64 v[42:45], v22 offset0:8 offset1:12
	v_add_co_u32_e32 v34, vcc, 0x80, v34
	v_addc_co_u32_e32 v35, vcc, 0, v35, vcc
	s_cmp_eq_u32 s60, s25
	s_waitcnt lgkmcnt(0)
	v_mfma_f32_16x16x16bf16_1k v[6:9], v[40:41], v[58:59], v[6:9]
	s_barrier
	v_mfma_f32_16x16x16bf16_1k v[40:43], v[40:41], v[42:43], v[10:13]
	v_mfma_f32_16x16x16bf16_1k v[18:21], v[38:39], v[24:25], v[18:21]
	;; [unrolled: 1-line block ×5, first 2 shown]
	s_cbranch_scc1 .LBB6_106
.LBB6_39:                               ;   Parent Loop BB6_17 Depth=1
                                        ; =>  This Inner Loop Header: Depth=2
	s_add_i32 s4, s28, -1
	s_and_b32 s29, s4, 1
	s_cmp_ge_i32 s28, s33
	s_cbranch_scc1 .LBB6_59
; %bb.40:                               ;   in Loop: Header=BB6_39 Depth=2
	v_add_u32_e32 v22, s25, v56
	v_cmp_gt_i32_e32 vcc, s22, v22
	s_and_b64 s[14:15], s[12:13], vcc
	v_mov_b32_e32 v23, 0
	v_mov_b32_e32 v22, 0
	s_and_saveexec_b64 s[4:5], s[14:15]
	s_cbranch_execz .LBB6_58
; %bb.41:                               ;   in Loop: Header=BB6_39 Depth=2
	global_load_dwordx4 v[22:25], v[32:33], off
	s_waitcnt vmcnt(0)
	v_and_b32_e32 v31, 0x7f800000, v22
	v_cmp_ne_u32_e32 vcc, s62, v31
                                        ; implicit-def: $vgpr31
	s_and_saveexec_b64 s[14:15], vcc
	s_xor_b64 s[14:15], exec, s[14:15]
; %bb.42:                               ;   in Loop: Header=BB6_39 Depth=2
	v_bfe_u32 v31, v22, 16, 1
	v_add3_u32 v31, v22, v31, s63
; %bb.43:                               ;   in Loop: Header=BB6_39 Depth=2
	s_andn2_saveexec_b64 s[14:15], s[14:15]
; %bb.44:                               ;   in Loop: Header=BB6_39 Depth=2
	v_or_b32_e32 v31, 0x10000, v22
	v_cmp_eq_u32_sdwa vcc, v22, v57 src0_sel:WORD_0 src1_sel:DWORD
	v_cndmask_b32_e32 v31, v31, v22, vcc
; %bb.45:                               ;   in Loop: Header=BB6_39 Depth=2
	s_or_b64 exec, exec, s[14:15]
	v_and_b32_e32 v22, 0x7f800000, v23
	v_cmp_ne_u32_e32 vcc, s62, v22
                                        ; implicit-def: $vgpr36
	s_and_saveexec_b64 s[14:15], vcc
	s_xor_b64 s[14:15], exec, s[14:15]
; %bb.46:                               ;   in Loop: Header=BB6_39 Depth=2
	v_bfe_u32 v22, v23, 16, 1
	v_add3_u32 v36, v23, v22, s63
; %bb.47:                               ;   in Loop: Header=BB6_39 Depth=2
	s_andn2_saveexec_b64 s[14:15], s[14:15]
; %bb.48:                               ;   in Loop: Header=BB6_39 Depth=2
	v_or_b32_e32 v22, 0x10000, v23
	v_cmp_eq_u32_sdwa vcc, v23, v57 src0_sel:WORD_0 src1_sel:DWORD
	v_cndmask_b32_e32 v36, v22, v23, vcc
; %bb.49:                               ;   in Loop: Header=BB6_39 Depth=2
	s_or_b64 exec, exec, s[14:15]
	v_and_b32_e32 v22, 0x7f800000, v24
	v_cmp_ne_u32_e32 vcc, s62, v22
                                        ; implicit-def: $vgpr37
	s_and_saveexec_b64 s[14:15], vcc
	s_xor_b64 s[14:15], exec, s[14:15]
; %bb.50:                               ;   in Loop: Header=BB6_39 Depth=2
	v_bfe_u32 v22, v24, 16, 1
	v_add3_u32 v37, v24, v22, s63
; %bb.51:                               ;   in Loop: Header=BB6_39 Depth=2
	s_andn2_saveexec_b64 s[14:15], s[14:15]
; %bb.52:                               ;   in Loop: Header=BB6_39 Depth=2
	v_or_b32_e32 v22, 0x10000, v24
	v_cmp_eq_u32_sdwa vcc, v24, v57 src0_sel:WORD_0 src1_sel:DWORD
	v_cndmask_b32_e32 v37, v22, v24, vcc
; %bb.53:                               ;   in Loop: Header=BB6_39 Depth=2
	s_or_b64 exec, exec, s[14:15]
	v_and_b32_e32 v22, 0x7f800000, v25
	v_cmp_ne_u32_e32 vcc, s62, v22
                                        ; implicit-def: $vgpr38
	s_and_saveexec_b64 s[14:15], vcc
	s_xor_b64 s[14:15], exec, s[14:15]
; %bb.54:                               ;   in Loop: Header=BB6_39 Depth=2
	v_bfe_u32 v22, v25, 16, 1
	v_add3_u32 v38, v25, v22, s63
                                        ; implicit-def: $vgpr22_vgpr23_vgpr24_vgpr25
; %bb.55:                               ;   in Loop: Header=BB6_39 Depth=2
	s_andn2_saveexec_b64 s[14:15], s[14:15]
; %bb.56:                               ;   in Loop: Header=BB6_39 Depth=2
	v_or_b32_e32 v22, 0x10000, v25
	v_cmp_eq_u32_sdwa vcc, v25, v57 src0_sel:WORD_0 src1_sel:DWORD
	v_cndmask_b32_e32 v38, v22, v25, vcc
; %bb.57:                               ;   in Loop: Header=BB6_39 Depth=2
	s_or_b64 exec, exec, s[14:15]
	v_perm_b32 v22, v36, v31, s65
	v_perm_b32 v23, v38, v37, s65
.LBB6_58:                               ;   in Loop: Header=BB6_39 Depth=2
	s_or_b64 exec, exec, s[4:5]
	s_xor_b32 s4, s29, 1
	s_mulk_i32 s4, 0x2200
	v_lshl_add_u32 v24, v53, 1, s4
	ds_write_b64 v24, v[22:23]
.LBB6_59:                               ;   in Loop: Header=BB6_39 Depth=2
	v_mov_b32_e32 v36, 0
	v_add_u32_e32 v31, s25, v48
	v_mov_b32_e32 v22, 0
	v_mov_b32_e32 v23, 0
	s_and_saveexec_b64 s[4:5], s[10:11]
	s_cbranch_execz .LBB6_71
; %bb.60:                               ;   in Loop: Header=BB6_39 Depth=2
	v_add_u32_e32 v22, 3, v31
	v_cmp_le_i32_e32 vcc, s22, v22
                                        ; implicit-def: $vgpr23
	s_and_saveexec_b64 s[14:15], vcc
	s_xor_b64 s[14:15], exec, s[14:15]
	s_cbranch_execz .LBB6_68
; %bb.61:                               ;   in Loop: Header=BB6_39 Depth=2
	v_cmp_gt_i32_e32 vcc, s22, v31
	v_mov_b32_e32 v23, 0
	v_mov_b32_e32 v22, 0
	s_and_saveexec_b64 s[16:17], vcc
	s_cbranch_execz .LBB6_63
; %bb.62:                               ;   in Loop: Header=BB6_39 Depth=2
	global_load_ushort v22, v[34:35], off offset:-100
	s_waitcnt vmcnt(0)
	v_and_b32_e32 v22, 0xffff, v22
.LBB6_63:                               ;   in Loop: Header=BB6_39 Depth=2
	s_or_b64 exec, exec, s[16:17]
	v_add_u32_e32 v24, 1, v31
	v_cmp_gt_i32_e32 vcc, s22, v24
	s_and_saveexec_b64 s[16:17], vcc
	s_cbranch_execz .LBB6_65
; %bb.64:                               ;   in Loop: Header=BB6_39 Depth=2
	global_load_ushort v24, v[34:35], off offset:-98
	s_waitcnt vmcnt(0)
	v_perm_b32 v22, v24, v22, s66
.LBB6_65:                               ;   in Loop: Header=BB6_39 Depth=2
	s_or_b64 exec, exec, s[16:17]
	v_add_u32_e32 v24, 2, v31
	v_cmp_gt_i32_e32 vcc, s22, v24
	s_and_saveexec_b64 s[16:17], vcc
	s_cbranch_execz .LBB6_67
; %bb.66:                               ;   in Loop: Header=BB6_39 Depth=2
	global_load_ushort v24, v[34:35], off offset:-96
	s_waitcnt vmcnt(0)
	v_bfi_b32 v23, s64, v24, v23
.LBB6_67:                               ;   in Loop: Header=BB6_39 Depth=2
	s_or_b64 exec, exec, s[16:17]
.LBB6_68:                               ;   in Loop: Header=BB6_39 Depth=2
	s_andn2_saveexec_b64 s[14:15], s[14:15]
	s_cbranch_execz .LBB6_70
; %bb.69:                               ;   in Loop: Header=BB6_39 Depth=2
	global_load_dwordx2 v[22:23], v[34:35], off offset:-100
.LBB6_70:                               ;   in Loop: Header=BB6_39 Depth=2
	s_or_b64 exec, exec, s[14:15]
.LBB6_71:                               ;   in Loop: Header=BB6_39 Depth=2
	s_or_b64 exec, exec, s[4:5]
	v_mov_b32_e32 v37, 0
	s_and_saveexec_b64 s[4:5], s[10:11]
	s_cbranch_execz .LBB6_83
; %bb.72:                               ;   in Loop: Header=BB6_39 Depth=2
	v_add_u32_e32 v24, 19, v31
	v_cmp_le_i32_e32 vcc, s22, v24
                                        ; implicit-def: $vgpr37
	s_and_saveexec_b64 s[14:15], vcc
	s_xor_b64 s[14:15], exec, s[14:15]
	s_cbranch_execz .LBB6_80
; %bb.73:                               ;   in Loop: Header=BB6_39 Depth=2
	v_add_u32_e32 v24, 16, v31
	v_cmp_gt_i32_e32 vcc, s22, v24
	v_mov_b32_e32 v37, 0
	v_mov_b32_e32 v36, 0
	s_and_saveexec_b64 s[16:17], vcc
	s_cbranch_execz .LBB6_75
; %bb.74:                               ;   in Loop: Header=BB6_39 Depth=2
	global_load_ushort v24, v[34:35], off offset:-68
	s_waitcnt vmcnt(0)
	v_and_b32_e32 v36, 0xffff, v24
.LBB6_75:                               ;   in Loop: Header=BB6_39 Depth=2
	s_or_b64 exec, exec, s[16:17]
	v_add_u32_e32 v24, 17, v31
	v_cmp_gt_i32_e32 vcc, s22, v24
	s_and_saveexec_b64 s[16:17], vcc
	s_cbranch_execz .LBB6_77
; %bb.76:                               ;   in Loop: Header=BB6_39 Depth=2
	global_load_ushort v24, v[34:35], off offset:-66
	s_waitcnt vmcnt(0)
	v_perm_b32 v36, v24, v36, s66
.LBB6_77:                               ;   in Loop: Header=BB6_39 Depth=2
	s_or_b64 exec, exec, s[16:17]
	v_add_u32_e32 v24, 18, v31
	v_cmp_gt_i32_e32 vcc, s22, v24
	s_and_saveexec_b64 s[16:17], vcc
	s_cbranch_execz .LBB6_79
; %bb.78:                               ;   in Loop: Header=BB6_39 Depth=2
	global_load_ushort v24, v[34:35], off offset:-64
	s_waitcnt vmcnt(0)
	v_bfi_b32 v37, s64, v24, v37
.LBB6_79:                               ;   in Loop: Header=BB6_39 Depth=2
	s_or_b64 exec, exec, s[16:17]
.LBB6_80:                               ;   in Loop: Header=BB6_39 Depth=2
	s_andn2_saveexec_b64 s[14:15], s[14:15]
	s_cbranch_execz .LBB6_82
; %bb.81:                               ;   in Loop: Header=BB6_39 Depth=2
	global_load_dwordx2 v[36:37], v[34:35], off offset:-68
.LBB6_82:                               ;   in Loop: Header=BB6_39 Depth=2
	s_or_b64 exec, exec, s[14:15]
.LBB6_83:                               ;   in Loop: Header=BB6_39 Depth=2
	s_or_b64 exec, exec, s[4:5]
	s_mulk_i32 s29, 0x2200
	v_add_u32_e32 v24, s29, v55
	v_lshl_add_u32 v42, v48, 1, v24
	ds_read_b64 v[24:25], v42
	ds_read_b64 v[38:39], v42 offset:2176
	ds_read_b64 v[40:41], v42 offset:4352
	;; [unrolled: 1-line block ×3, first 2 shown]
	s_waitcnt vmcnt(0) lgkmcnt(3)
	v_mfma_f32_16x16x16bf16_1k v[18:21], v[22:23], v[24:25], v[18:21]
	s_waitcnt lgkmcnt(2)
	v_mfma_f32_16x16x16bf16_1k v[14:17], v[22:23], v[38:39], v[14:17]
	v_mov_b32_e32 v38, 0
	s_waitcnt lgkmcnt(1)
	v_mfma_f32_16x16x16bf16_1k v[10:13], v[22:23], v[40:41], v[10:13]
	v_mov_b32_e32 v40, 0
	v_mov_b32_e32 v41, 0
	s_waitcnt lgkmcnt(0)
	v_mfma_f32_16x16x16bf16_1k v[22:25], v[22:23], v[44:45], v[6:9]
	s_and_saveexec_b64 s[4:5], s[10:11]
	s_cbranch_execz .LBB6_95
; %bb.84:                               ;   in Loop: Header=BB6_39 Depth=2
	s_nop 4
	v_add_u32_e32 v6, 35, v31
	v_cmp_le_i32_e32 vcc, s22, v6
                                        ; implicit-def: $vgpr41
	s_and_saveexec_b64 s[14:15], vcc
	s_xor_b64 s[14:15], exec, s[14:15]
	s_cbranch_execz .LBB6_92
; %bb.85:                               ;   in Loop: Header=BB6_39 Depth=2
	v_add_u32_e32 v6, 32, v31
	v_cmp_gt_i32_e32 vcc, s22, v6
	v_mov_b32_e32 v41, 0
	v_mov_b32_e32 v40, 0
	s_and_saveexec_b64 s[16:17], vcc
	s_cbranch_execz .LBB6_87
; %bb.86:                               ;   in Loop: Header=BB6_39 Depth=2
	global_load_ushort v6, v[34:35], off offset:-36
	s_waitcnt vmcnt(0)
	v_and_b32_e32 v40, 0xffff, v6
.LBB6_87:                               ;   in Loop: Header=BB6_39 Depth=2
	s_or_b64 exec, exec, s[16:17]
	v_add_u32_e32 v6, 33, v31
	v_cmp_gt_i32_e32 vcc, s22, v6
	s_and_saveexec_b64 s[16:17], vcc
	s_cbranch_execz .LBB6_89
; %bb.88:                               ;   in Loop: Header=BB6_39 Depth=2
	global_load_ushort v6, v[34:35], off offset:-34
	s_waitcnt vmcnt(0)
	v_perm_b32 v40, v6, v40, s66
.LBB6_89:                               ;   in Loop: Header=BB6_39 Depth=2
	s_or_b64 exec, exec, s[16:17]
	v_add_u32_e32 v6, 34, v31
	v_cmp_gt_i32_e32 vcc, s22, v6
	s_and_saveexec_b64 s[16:17], vcc
	s_cbranch_execz .LBB6_91
; %bb.90:                               ;   in Loop: Header=BB6_39 Depth=2
	global_load_ushort v6, v[34:35], off offset:-32
	s_waitcnt vmcnt(0)
	v_bfi_b32 v41, s64, v6, v41
.LBB6_91:                               ;   in Loop: Header=BB6_39 Depth=2
	s_or_b64 exec, exec, s[16:17]
.LBB6_92:                               ;   in Loop: Header=BB6_39 Depth=2
	s_andn2_saveexec_b64 s[14:15], s[14:15]
	s_cbranch_execz .LBB6_94
; %bb.93:                               ;   in Loop: Header=BB6_39 Depth=2
	global_load_dwordx2 v[40:41], v[34:35], off offset:-36
.LBB6_94:                               ;   in Loop: Header=BB6_39 Depth=2
	s_or_b64 exec, exec, s[14:15]
.LBB6_95:                               ;   in Loop: Header=BB6_39 Depth=2
	s_or_b64 exec, exec, s[4:5]
	s_nop 3
	ds_read_b64 v[6:7], v42 offset:32
	ds_read_b64 v[8:9], v42 offset:2208
	;; [unrolled: 1-line block ×4, first 2 shown]
	v_mov_b32_e32 v39, 0
	s_waitcnt lgkmcnt(3)
	v_mfma_f32_16x16x16bf16_1k v[18:21], v[36:37], v[6:7], v[18:21]
	s_waitcnt lgkmcnt(2)
	v_mfma_f32_16x16x16bf16_1k v[14:17], v[36:37], v[8:9], v[14:17]
	;; [unrolled: 2-line block ×4, first 2 shown]
	s_and_saveexec_b64 s[4:5], s[10:11]
	s_cbranch_execz .LBB6_38
; %bb.96:                               ;   in Loop: Header=BB6_39 Depth=2
	s_nop 4
	v_add_u32_e32 v22, 51, v31
	v_cmp_le_i32_e32 vcc, s22, v22
                                        ; implicit-def: $vgpr39
	s_and_saveexec_b64 s[14:15], vcc
	s_xor_b64 s[14:15], exec, s[14:15]
	s_cbranch_execz .LBB6_104
; %bb.97:                               ;   in Loop: Header=BB6_39 Depth=2
	v_add_u32_e32 v22, 48, v31
	v_cmp_gt_i32_e32 vcc, s22, v22
	v_mov_b32_e32 v39, 0
	v_mov_b32_e32 v38, 0
	s_and_saveexec_b64 s[16:17], vcc
	s_cbranch_execz .LBB6_99
; %bb.98:                               ;   in Loop: Header=BB6_39 Depth=2
	global_load_ushort v22, v[34:35], off offset:-4
	s_waitcnt vmcnt(0)
	v_and_b32_e32 v38, 0xffff, v22
.LBB6_99:                               ;   in Loop: Header=BB6_39 Depth=2
	s_or_b64 exec, exec, s[16:17]
	v_add_u32_e32 v22, 49, v31
	v_cmp_gt_i32_e32 vcc, s22, v22
	s_and_saveexec_b64 s[16:17], vcc
	s_cbranch_execz .LBB6_101
; %bb.100:                              ;   in Loop: Header=BB6_39 Depth=2
	global_load_ushort v22, v[34:35], off offset:-2
	s_waitcnt vmcnt(0)
	v_perm_b32 v38, v22, v38, s66
.LBB6_101:                              ;   in Loop: Header=BB6_39 Depth=2
	s_or_b64 exec, exec, s[16:17]
	v_add_u32_e32 v22, 50, v31
	v_cmp_gt_i32_e32 vcc, s22, v22
	s_and_saveexec_b64 s[16:17], vcc
	s_cbranch_execz .LBB6_103
; %bb.102:                              ;   in Loop: Header=BB6_39 Depth=2
	global_load_ushort v22, v[34:35], off
	s_waitcnt vmcnt(0)
	v_bfi_b32 v39, s64, v22, v39
.LBB6_103:                              ;   in Loop: Header=BB6_39 Depth=2
	s_or_b64 exec, exec, s[16:17]
.LBB6_104:                              ;   in Loop: Header=BB6_39 Depth=2
	s_andn2_saveexec_b64 s[14:15], s[14:15]
	s_cbranch_execz .LBB6_37
; %bb.105:                              ;   in Loop: Header=BB6_39 Depth=2
	global_load_dwordx2 v[38:39], v[34:35], off offset:-4
	s_branch .LBB6_37
.LBB6_106:                              ;   in Loop: Header=BB6_17 Depth=1
	v_or_b32_e32 v44, s24, v49
	v_pk_mov_b32 v[38:39], 0, 0
	v_cmp_gt_i32_e32 vcc, s35, v44
	s_waitcnt vmcnt(0)
	v_mov_b32_e32 v36, 0
	s_nop 0
	v_pk_mov_b32 v[42:43], v[38:39], v[38:39] op_sel:[0,1]
	v_mov_b32_e32 v40, 0
	s_and_saveexec_b64 s[4:5], vcc
	s_cbranch_execz .LBB6_108
; %bb.107:                              ;   in Loop: Header=BB6_17 Depth=1
	v_ashrrev_i32_e32 v45, 31, v44
	v_lshlrev_b64 v[22:23], 2, v[44:45]
	v_mov_b32_e32 v25, s44
	v_add_co_u32_e32 v24, vcc, s34, v22
	v_addc_co_u32_e32 v25, vcc, v25, v23, vcc
	global_load_dword v24, v[24:25], off
	v_mov_b32_e32 v25, s46
	v_add_co_u32_e32 v22, vcc, s45, v22
	v_addc_co_u32_e32 v23, vcc, v25, v23, vcc
	global_load_dword v40, v[22:23], off
	v_mov_b32_e32 v25, s31
	s_waitcnt vmcnt(1)
	v_mad_i64_i32 v[22:23], s[12:13], v24, s23, 0
	v_lshlrev_b64 v[22:23], 2, v[22:23]
	v_add_co_u32_e32 v42, vcc, s30, v22
	v_addc_co_u32_e32 v43, vcc, v25, v23, vcc
.LBB6_108:                              ;   in Loop: Header=BB6_17 Depth=1
	s_or_b64 exec, exec, s[4:5]
	v_or_b32_e32 v22, 16, v44
	v_cmp_gt_i32_e32 vcc, s35, v22
	s_and_saveexec_b64 s[4:5], vcc
	s_cbranch_execz .LBB6_110
; %bb.109:                              ;   in Loop: Header=BB6_17 Depth=1
	v_ashrrev_i32_e32 v45, 31, v44
	v_lshlrev_b64 v[22:23], 2, v[44:45]
	v_mov_b32_e32 v25, s49
	v_add_co_u32_e32 v24, vcc, s48, v22
	v_addc_co_u32_e32 v25, vcc, v25, v23, vcc
	global_load_dword v24, v[24:25], off
	v_mov_b32_e32 v25, s51
	v_add_co_u32_e32 v22, vcc, s50, v22
	v_addc_co_u32_e32 v23, vcc, v25, v23, vcc
	global_load_dword v36, v[22:23], off
	v_mov_b32_e32 v25, s31
	s_waitcnt vmcnt(1)
	v_mad_i64_i32 v[22:23], s[12:13], v24, s23, 0
	v_lshlrev_b64 v[22:23], 2, v[22:23]
	v_add_co_u32_e32 v38, vcc, s30, v22
	v_addc_co_u32_e32 v39, vcc, v25, v23, vcc
.LBB6_110:                              ;   in Loop: Header=BB6_17 Depth=1
	s_or_b64 exec, exec, s[4:5]
	v_or_b32_e32 v22, 32, v44
	v_pk_mov_b32 v[24:25], 0, 0
	v_cmp_gt_i32_e32 vcc, s35, v22
	v_mov_b32_e32 v22, 0
	v_pk_mov_b32 v[34:35], v[24:25], v[24:25] op_sel:[0,1]
	v_mov_b32_e32 v32, 0
	s_and_saveexec_b64 s[4:5], vcc
	s_cbranch_execz .LBB6_112
; %bb.111:                              ;   in Loop: Header=BB6_17 Depth=1
	v_ashrrev_i32_e32 v45, 31, v44
	v_lshlrev_b64 v[32:33], 2, v[44:45]
	v_mov_b32_e32 v23, s53
	v_add_co_u32_e32 v34, vcc, s52, v32
	v_addc_co_u32_e32 v35, vcc, v23, v33, vcc
	global_load_dword v23, v[34:35], off
	v_mov_b32_e32 v31, s55
	v_add_co_u32_e32 v32, vcc, s54, v32
	v_addc_co_u32_e32 v33, vcc, v31, v33, vcc
	global_load_dword v32, v[32:33], off
	v_mov_b32_e32 v31, s31
	s_waitcnt vmcnt(1)
	v_mad_i64_i32 v[34:35], s[12:13], v23, s23, 0
	v_lshlrev_b64 v[34:35], 2, v[34:35]
	v_add_co_u32_e32 v34, vcc, s30, v34
	v_addc_co_u32_e32 v35, vcc, v31, v35, vcc
.LBB6_112:                              ;   in Loop: Header=BB6_17 Depth=1
	s_or_b64 exec, exec, s[4:5]
	v_or_b32_e32 v23, 48, v44
	v_cmp_gt_i32_e32 vcc, s35, v23
	s_and_saveexec_b64 s[4:5], vcc
	s_cbranch_execz .LBB6_114
; %bb.113:                              ;   in Loop: Header=BB6_17 Depth=1
	v_ashrrev_i32_e32 v45, 31, v44
	v_lshlrev_b64 v[22:23], 2, v[44:45]
	v_mov_b32_e32 v25, s57
	v_add_co_u32_e32 v24, vcc, s56, v22
	v_addc_co_u32_e32 v25, vcc, v25, v23, vcc
	global_load_dword v24, v[24:25], off
	v_mov_b32_e32 v25, s59
	v_add_co_u32_e32 v22, vcc, s58, v22
	v_addc_co_u32_e32 v23, vcc, v25, v23, vcc
	global_load_dword v22, v[22:23], off
	v_mov_b32_e32 v23, s31
	s_waitcnt vmcnt(1)
	v_mad_i64_i32 v[24:25], s[12:13], v24, s23, 0
	v_lshlrev_b64 v[24:25], 2, v[24:25]
	v_add_co_u32_e32 v24, vcc, s30, v24
	v_addc_co_u32_e32 v25, vcc, v23, v25, vcc
.LBB6_114:                              ;   in Loop: Header=BB6_17 Depth=1
	s_or_b64 exec, exec, s[4:5]
	v_cmp_ne_u64_e32 vcc, 0, v[42:43]
	s_and_saveexec_b64 s[4:5], s[20:21]
	s_xor_b64 s[24:25], exec, s[4:5]
	s_cbranch_execz .LBB6_155
; %bb.115:                              ;   in Loop: Header=BB6_17 Depth=1
	v_cmp_ne_u64_e64 s[16:17], 0, v[38:39]
	v_cmp_ne_u64_e64 s[14:15], 0, v[34:35]
	;; [unrolled: 1-line block ×3, first 2 shown]
	s_and_saveexec_b64 s[28:29], s[0:1]
	s_cbranch_execz .LBB6_128
; %bb.116:                              ;   in Loop: Header=BB6_17 Depth=1
	s_and_saveexec_b64 s[38:39], vcc
	s_cbranch_execz .LBB6_119
; %bb.117:                              ;   in Loop: Header=BB6_17 Depth=1
	v_lshlrev_b64 v[44:45], 2, v[26:27]
	v_add_co_u32_e64 v44, s[4:5], v42, v44
	v_addc_co_u32_e64 v45, s[4:5], v43, v45, s[4:5]
	flat_load_dword v47, v[44:45]
	s_waitcnt vmcnt(0)
	v_mul_f32_e32 v9, v40, v18
	s_mov_b64 s[40:41], 0
.LBB6_118:                              ;   Parent Loop BB6_17 Depth=1
                                        ; =>  This Inner Loop Header: Depth=2
	s_waitcnt lgkmcnt(0)
	v_add_f32_e32 v46, v47, v9
	flat_atomic_cmpswap v13, v[44:45], v[46:47] glc
	s_waitcnt vmcnt(0) lgkmcnt(0)
	v_cmp_eq_u32_e64 s[4:5], v13, v47
	s_or_b64 s[40:41], s[4:5], s[40:41]
	v_mov_b32_e32 v47, v13
	s_andn2_b64 exec, exec, s[40:41]
	s_cbranch_execnz .LBB6_118
.LBB6_119:                              ;   in Loop: Header=BB6_17 Depth=1
	s_or_b64 exec, exec, s[38:39]
	s_and_saveexec_b64 s[38:39], s[16:17]
	s_cbranch_execz .LBB6_122
; %bb.120:                              ;   in Loop: Header=BB6_17 Depth=1
	v_lshlrev_b64 v[44:45], 2, v[26:27]
	v_add_co_u32_e64 v44, s[4:5], v38, v44
	v_addc_co_u32_e64 v45, s[4:5], v39, v45, s[4:5]
	flat_load_dword v47, v[44:45]
	s_waitcnt vmcnt(0)
	v_mul_f32_e32 v9, v36, v14
	s_mov_b64 s[40:41], 0
.LBB6_121:                              ;   Parent Loop BB6_17 Depth=1
                                        ; =>  This Inner Loop Header: Depth=2
	s_waitcnt lgkmcnt(0)
	v_add_f32_e32 v46, v47, v9
	flat_atomic_cmpswap v13, v[44:45], v[46:47] glc
	s_waitcnt vmcnt(0) lgkmcnt(0)
	v_cmp_eq_u32_e64 s[4:5], v13, v47
	s_or_b64 s[40:41], s[4:5], s[40:41]
	v_mov_b32_e32 v47, v13
	s_andn2_b64 exec, exec, s[40:41]
	s_cbranch_execnz .LBB6_121
.LBB6_122:                              ;   in Loop: Header=BB6_17 Depth=1
	s_or_b64 exec, exec, s[38:39]
	s_and_saveexec_b64 s[38:39], s[14:15]
	s_cbranch_execz .LBB6_125
; %bb.123:                              ;   in Loop: Header=BB6_17 Depth=1
	v_lshlrev_b64 v[44:45], 2, v[26:27]
	v_add_co_u32_e64 v44, s[4:5], v34, v44
	v_addc_co_u32_e64 v45, s[4:5], v35, v45, s[4:5]
	flat_load_dword v47, v[44:45]
	s_waitcnt vmcnt(0)
	v_mul_f32_e32 v9, v32, v10
	s_mov_b64 s[40:41], 0
.LBB6_124:                              ;   Parent Loop BB6_17 Depth=1
                                        ; =>  This Inner Loop Header: Depth=2
	s_waitcnt lgkmcnt(0)
	v_add_f32_e32 v46, v47, v9
	flat_atomic_cmpswap v10, v[44:45], v[46:47] glc
	s_waitcnt vmcnt(0) lgkmcnt(0)
	v_cmp_eq_u32_e64 s[4:5], v10, v47
	s_or_b64 s[40:41], s[4:5], s[40:41]
	v_mov_b32_e32 v47, v10
	s_andn2_b64 exec, exec, s[40:41]
	s_cbranch_execnz .LBB6_124
.LBB6_125:                              ;   in Loop: Header=BB6_17 Depth=1
	s_or_b64 exec, exec, s[38:39]
	s_and_b64 exec, exec, s[12:13]
	s_cbranch_execz .LBB6_128
; %bb.126:                              ;   in Loop: Header=BB6_17 Depth=1
	v_lshlrev_b64 v[44:45], 2, v[26:27]
	v_add_co_u32_e64 v44, s[4:5], v24, v44
	v_addc_co_u32_e64 v45, s[4:5], v25, v45, s[4:5]
	flat_load_dword v47, v[44:45]
	s_waitcnt vmcnt(0)
	v_mul_f32_e32 v6, v22, v6
	s_mov_b64 s[38:39], 0
.LBB6_127:                              ;   Parent Loop BB6_17 Depth=1
                                        ; =>  This Inner Loop Header: Depth=2
	s_waitcnt lgkmcnt(0)
	v_add_f32_e32 v46, v47, v6
	flat_atomic_cmpswap v9, v[44:45], v[46:47] glc
	s_waitcnt vmcnt(0) lgkmcnt(0)
	v_cmp_eq_u32_e64 s[4:5], v9, v47
	s_or_b64 s[38:39], s[4:5], s[38:39]
	v_mov_b32_e32 v47, v9
	s_andn2_b64 exec, exec, s[38:39]
	s_cbranch_execnz .LBB6_127
.LBB6_128:                              ;   in Loop: Header=BB6_17 Depth=1
	s_or_b64 exec, exec, s[28:29]
	s_and_saveexec_b64 s[28:29], s[2:3]
	s_cbranch_execz .LBB6_141
; %bb.129:                              ;   in Loop: Header=BB6_17 Depth=1
	s_and_saveexec_b64 s[38:39], vcc
	s_cbranch_execz .LBB6_132
; %bb.130:                              ;   in Loop: Header=BB6_17 Depth=1
	v_lshlrev_b64 v[44:45], 2, v[26:27]
	v_add_co_u32_e64 v44, s[4:5], v42, v44
	v_addc_co_u32_e64 v45, s[4:5], v43, v45, s[4:5]
	flat_load_dword v47, v[44:45] offset:4
	s_waitcnt vmcnt(0)
	v_mul_f32_e32 v6, v40, v19
	s_mov_b64 s[40:41], 0
.LBB6_131:                              ;   Parent Loop BB6_17 Depth=1
                                        ; =>  This Inner Loop Header: Depth=2
	s_waitcnt lgkmcnt(0)
	v_add_f32_e32 v46, v47, v6
	flat_atomic_cmpswap v9, v[44:45], v[46:47] offset:4 glc
	s_waitcnt vmcnt(0) lgkmcnt(0)
	v_cmp_eq_u32_e64 s[4:5], v9, v47
	s_or_b64 s[40:41], s[4:5], s[40:41]
	v_mov_b32_e32 v47, v9
	s_andn2_b64 exec, exec, s[40:41]
	s_cbranch_execnz .LBB6_131
.LBB6_132:                              ;   in Loop: Header=BB6_17 Depth=1
	s_or_b64 exec, exec, s[38:39]
	s_and_saveexec_b64 s[38:39], s[16:17]
	s_cbranch_execz .LBB6_135
; %bb.133:                              ;   in Loop: Header=BB6_17 Depth=1
	v_lshlrev_b64 v[18:19], 2, v[26:27]
	v_add_co_u32_e64 v18, s[4:5], v38, v18
	v_addc_co_u32_e64 v19, s[4:5], v39, v19, s[4:5]
	flat_load_dword v45, v[18:19] offset:4
	s_waitcnt vmcnt(0)
	v_mul_f32_e32 v6, v36, v15
	s_mov_b64 s[40:41], 0
.LBB6_134:                              ;   Parent Loop BB6_17 Depth=1
                                        ; =>  This Inner Loop Header: Depth=2
	s_waitcnt lgkmcnt(0)
	v_add_f32_e32 v44, v45, v6
	flat_atomic_cmpswap v9, v[18:19], v[44:45] offset:4 glc
	s_waitcnt vmcnt(0) lgkmcnt(0)
	v_cmp_eq_u32_e64 s[4:5], v9, v45
	s_or_b64 s[40:41], s[4:5], s[40:41]
	v_mov_b32_e32 v45, v9
	s_andn2_b64 exec, exec, s[40:41]
	s_cbranch_execnz .LBB6_134
.LBB6_135:                              ;   in Loop: Header=BB6_17 Depth=1
	s_or_b64 exec, exec, s[38:39]
	s_and_saveexec_b64 s[38:39], s[14:15]
	s_cbranch_execz .LBB6_138
; %bb.136:                              ;   in Loop: Header=BB6_17 Depth=1
	v_lshlrev_b64 v[14:15], 2, v[26:27]
	v_add_co_u32_e64 v14, s[4:5], v34, v14
	v_addc_co_u32_e64 v15, s[4:5], v35, v15, s[4:5]
	flat_load_dword v19, v[14:15] offset:4
	s_waitcnt vmcnt(0)
	v_mul_f32_e32 v6, v32, v11
	s_mov_b64 s[40:41], 0
.LBB6_137:                              ;   Parent Loop BB6_17 Depth=1
                                        ; =>  This Inner Loop Header: Depth=2
	s_waitcnt lgkmcnt(0)
	v_add_f32_e32 v18, v19, v6
	flat_atomic_cmpswap v9, v[14:15], v[18:19] offset:4 glc
	s_waitcnt vmcnt(0) lgkmcnt(0)
	v_cmp_eq_u32_e64 s[4:5], v9, v19
	s_or_b64 s[40:41], s[4:5], s[40:41]
	v_mov_b32_e32 v19, v9
	s_andn2_b64 exec, exec, s[40:41]
	s_cbranch_execnz .LBB6_137
.LBB6_138:                              ;   in Loop: Header=BB6_17 Depth=1
	s_or_b64 exec, exec, s[38:39]
	s_and_b64 exec, exec, s[12:13]
	s_cbranch_execz .LBB6_141
; %bb.139:                              ;   in Loop: Header=BB6_17 Depth=1
	v_lshlrev_b64 v[10:11], 2, v[26:27]
	v_add_co_u32_e64 v10, s[4:5], v24, v10
	v_addc_co_u32_e64 v11, s[4:5], v25, v11, s[4:5]
	flat_load_dword v15, v[10:11] offset:4
	s_waitcnt vmcnt(0)
	v_mul_f32_e32 v6, v22, v7
	s_mov_b64 s[38:39], 0
.LBB6_140:                              ;   Parent Loop BB6_17 Depth=1
                                        ; =>  This Inner Loop Header: Depth=2
	s_waitcnt lgkmcnt(0)
	v_add_f32_e32 v14, v15, v6
	flat_atomic_cmpswap v7, v[10:11], v[14:15] offset:4 glc
	s_waitcnt vmcnt(0) lgkmcnt(0)
	v_cmp_eq_u32_e64 s[4:5], v7, v15
	s_or_b64 s[38:39], s[4:5], s[38:39]
	v_mov_b32_e32 v15, v7
	s_andn2_b64 exec, exec, s[38:39]
	s_cbranch_execnz .LBB6_140
.LBB6_141:                              ;   in Loop: Header=BB6_17 Depth=1
	s_or_b64 exec, exec, s[28:29]
	s_and_saveexec_b64 s[28:29], s[18:19]
	s_cbranch_execz .LBB6_154
; %bb.142:                              ;   in Loop: Header=BB6_17 Depth=1
	s_and_saveexec_b64 s[38:39], vcc
	s_cbranch_execz .LBB6_145
; %bb.143:                              ;   in Loop: Header=BB6_17 Depth=1
	v_lshlrev_b64 v[6:7], 2, v[26:27]
	v_add_co_u32_e64 v6, s[4:5], v42, v6
	v_addc_co_u32_e64 v7, s[4:5], v43, v7, s[4:5]
	flat_load_dword v11, v[6:7] offset:8
	s_waitcnt vmcnt(0)
	v_mul_f32_e32 v9, v40, v20
	s_mov_b64 s[40:41], 0
.LBB6_144:                              ;   Parent Loop BB6_17 Depth=1
                                        ; =>  This Inner Loop Header: Depth=2
	s_waitcnt lgkmcnt(0)
	v_add_f32_e32 v10, v11, v9
	flat_atomic_cmpswap v10, v[6:7], v[10:11] offset:8 glc
	s_waitcnt vmcnt(0) lgkmcnt(0)
	v_cmp_eq_u32_e64 s[4:5], v10, v11
	s_or_b64 s[40:41], s[4:5], s[40:41]
	v_mov_b32_e32 v11, v10
	s_andn2_b64 exec, exec, s[40:41]
	s_cbranch_execnz .LBB6_144
.LBB6_145:                              ;   in Loop: Header=BB6_17 Depth=1
	s_or_b64 exec, exec, s[38:39]
	s_and_saveexec_b64 s[38:39], s[16:17]
	s_cbranch_execz .LBB6_148
; %bb.146:                              ;   in Loop: Header=BB6_17 Depth=1
	v_lshlrev_b64 v[6:7], 2, v[26:27]
	v_add_co_u32_e64 v6, s[4:5], v38, v6
	v_addc_co_u32_e64 v7, s[4:5], v39, v7, s[4:5]
	flat_load_dword v11, v[6:7] offset:8
	s_waitcnt vmcnt(0)
	v_mul_f32_e32 v9, v36, v16
	s_mov_b64 s[16:17], 0
.LBB6_147:                              ;   Parent Loop BB6_17 Depth=1
                                        ; =>  This Inner Loop Header: Depth=2
	s_waitcnt lgkmcnt(0)
	v_add_f32_e32 v10, v11, v9
	flat_atomic_cmpswap v10, v[6:7], v[10:11] offset:8 glc
	s_waitcnt vmcnt(0) lgkmcnt(0)
	v_cmp_eq_u32_e64 s[4:5], v10, v11
	s_or_b64 s[16:17], s[4:5], s[16:17]
	v_mov_b32_e32 v11, v10
	s_andn2_b64 exec, exec, s[16:17]
	s_cbranch_execnz .LBB6_147
.LBB6_148:                              ;   in Loop: Header=BB6_17 Depth=1
	s_or_b64 exec, exec, s[38:39]
	s_and_saveexec_b64 s[16:17], s[14:15]
	s_cbranch_execz .LBB6_151
; %bb.149:                              ;   in Loop: Header=BB6_17 Depth=1
	v_lshlrev_b64 v[6:7], 2, v[26:27]
	v_add_co_u32_e64 v6, s[4:5], v34, v6
	v_addc_co_u32_e64 v7, s[4:5], v35, v7, s[4:5]
	flat_load_dword v11, v[6:7] offset:8
	s_waitcnt vmcnt(0)
	v_mul_f32_e32 v9, v32, v12
	s_mov_b64 s[14:15], 0
.LBB6_150:                              ;   Parent Loop BB6_17 Depth=1
                                        ; =>  This Inner Loop Header: Depth=2
	s_waitcnt lgkmcnt(0)
	v_add_f32_e32 v10, v11, v9
	flat_atomic_cmpswap v10, v[6:7], v[10:11] offset:8 glc
	s_waitcnt vmcnt(0) lgkmcnt(0)
	v_cmp_eq_u32_e64 s[4:5], v10, v11
	s_or_b64 s[14:15], s[4:5], s[14:15]
	v_mov_b32_e32 v11, v10
	s_andn2_b64 exec, exec, s[14:15]
	s_cbranch_execnz .LBB6_150
.LBB6_151:                              ;   in Loop: Header=BB6_17 Depth=1
	s_or_b64 exec, exec, s[16:17]
	s_and_b64 exec, exec, s[12:13]
	s_cbranch_execz .LBB6_154
; %bb.152:                              ;   in Loop: Header=BB6_17 Depth=1
	v_lshlrev_b64 v[6:7], 2, v[26:27]
	v_add_co_u32_e64 v6, s[4:5], v24, v6
	v_addc_co_u32_e64 v7, s[4:5], v25, v7, s[4:5]
	flat_load_dword v9, v[6:7] offset:8
	s_waitcnt vmcnt(0)
	v_mul_f32_e32 v10, v22, v8
	s_mov_b64 s[12:13], 0
.LBB6_153:                              ;   Parent Loop BB6_17 Depth=1
                                        ; =>  This Inner Loop Header: Depth=2
	s_waitcnt lgkmcnt(0)
	v_add_f32_e32 v8, v9, v10
	flat_atomic_cmpswap v8, v[6:7], v[8:9] offset:8 glc
	s_waitcnt vmcnt(0) lgkmcnt(0)
	v_cmp_eq_u32_e64 s[4:5], v8, v9
	s_or_b64 s[12:13], s[4:5], s[12:13]
	v_mov_b32_e32 v9, v8
	s_andn2_b64 exec, exec, s[12:13]
	s_cbranch_execnz .LBB6_153
.LBB6_154:                              ;   in Loop: Header=BB6_17 Depth=1
	s_or_b64 exec, exec, s[28:29]
                                        ; implicit-def: $vgpr18_vgpr19_vgpr20_vgpr21
                                        ; implicit-def: $vgpr14_vgpr15_vgpr16_vgpr17
                                        ; implicit-def: $vgpr10_vgpr11_vgpr12_vgpr13
                                        ; implicit-def: $vgpr6_vgpr7_vgpr8_vgpr9
                                        ; implicit-def: $vgpr42_vgpr43
                                        ; implicit-def: $vgpr40
                                        ; implicit-def: $vgpr38_vgpr39
                                        ; implicit-def: $vgpr36
                                        ; implicit-def: $vgpr34_vgpr35
                                        ; implicit-def: $vgpr32
                                        ; implicit-def: $vgpr24_vgpr25
                                        ; implicit-def: $vgpr22
.LBB6_155:                              ;   in Loop: Header=BB6_17 Depth=1
	s_andn2_saveexec_b64 s[4:5], s[24:25]
	s_cbranch_execz .LBB6_16
; %bb.156:                              ;   in Loop: Header=BB6_17 Depth=1
	s_and_saveexec_b64 s[12:13], vcc
	s_cbranch_execz .LBB6_165
; %bb.157:                              ;   in Loop: Header=BB6_17 Depth=1
	v_lshlrev_b64 v[44:45], 2, v[26:27]
	v_add_co_u32_e32 v42, vcc, v42, v44
	v_addc_co_u32_e32 v43, vcc, v43, v45, vcc
	flat_load_dword v41, v[42:43]
	s_mov_b64 s[14:15], 0
	s_waitcnt vmcnt(0) lgkmcnt(0)
	v_pk_mul_f32 v[20:21], v[20:21], v[40:41] op_sel_hi:[1,0]
	v_pk_mul_f32 v[18:19], v[18:19], v[40:41] op_sel_hi:[1,0]
.LBB6_158:                              ;   Parent Loop BB6_17 Depth=1
                                        ; =>  This Inner Loop Header: Depth=2
	v_add_f32_e32 v40, v41, v18
	flat_atomic_cmpswap v23, v[42:43], v[40:41] glc
	s_waitcnt vmcnt(0) lgkmcnt(0)
	v_cmp_eq_u32_e32 vcc, v23, v41
	s_or_b64 s[14:15], vcc, s[14:15]
	v_mov_b32_e32 v41, v23
	s_andn2_b64 exec, exec, s[14:15]
	s_cbranch_execnz .LBB6_158
; %bb.159:                              ;   in Loop: Header=BB6_17 Depth=1
	s_or_b64 exec, exec, s[14:15]
	flat_load_dword v41, v[42:43] offset:4
	s_mov_b64 s[14:15], 0
.LBB6_160:                              ;   Parent Loop BB6_17 Depth=1
                                        ; =>  This Inner Loop Header: Depth=2
	s_waitcnt vmcnt(0) lgkmcnt(0)
	v_add_f32_e32 v40, v41, v19
	flat_atomic_cmpswap v18, v[42:43], v[40:41] offset:4 glc
	s_waitcnt vmcnt(0) lgkmcnt(0)
	v_cmp_eq_u32_e32 vcc, v18, v41
	s_or_b64 s[14:15], vcc, s[14:15]
	v_mov_b32_e32 v41, v18
	s_andn2_b64 exec, exec, s[14:15]
	s_cbranch_execnz .LBB6_160
; %bb.161:                              ;   in Loop: Header=BB6_17 Depth=1
	s_or_b64 exec, exec, s[14:15]
	flat_load_dword v19, v[42:43] offset:8
	s_mov_b64 s[14:15], 0
.LBB6_162:                              ;   Parent Loop BB6_17 Depth=1
                                        ; =>  This Inner Loop Header: Depth=2
	s_waitcnt vmcnt(0) lgkmcnt(0)
	v_add_f32_e32 v18, v19, v20
	flat_atomic_cmpswap v18, v[42:43], v[18:19] offset:8 glc
	s_waitcnt vmcnt(0) lgkmcnt(0)
	v_cmp_eq_u32_e32 vcc, v18, v19
	s_or_b64 s[14:15], vcc, s[14:15]
	v_mov_b32_e32 v19, v18
	s_andn2_b64 exec, exec, s[14:15]
	s_cbranch_execnz .LBB6_162
	;; [unrolled: 15-line block ×3, first 2 shown]
.LBB6_165:                              ;   in Loop: Header=BB6_17 Depth=1
	s_or_b64 exec, exec, s[12:13]
	v_cmp_ne_u64_e32 vcc, 0, v[38:39]
	s_and_saveexec_b64 s[12:13], vcc
	s_cbranch_execz .LBB6_174
; %bb.166:                              ;   in Loop: Header=BB6_17 Depth=1
	v_lshlrev_b64 v[18:19], 2, v[26:27]
	v_add_co_u32_e32 v18, vcc, v38, v18
	v_addc_co_u32_e32 v19, vcc, v39, v19, vcc
	flat_load_dword v21, v[18:19]
	s_waitcnt vmcnt(0)
	v_pk_mul_f32 v[16:17], v[16:17], v[36:37] op_sel_hi:[1,0]
	v_pk_mul_f32 v[14:15], v[14:15], v[36:37] op_sel_hi:[1,0]
	s_mov_b64 s[14:15], 0
.LBB6_167:                              ;   Parent Loop BB6_17 Depth=1
                                        ; =>  This Inner Loop Header: Depth=2
	s_waitcnt lgkmcnt(0)
	v_add_f32_e32 v20, v21, v14
	flat_atomic_cmpswap v20, v[18:19], v[20:21] glc
	s_waitcnt vmcnt(0) lgkmcnt(0)
	v_cmp_eq_u32_e32 vcc, v20, v21
	s_or_b64 s[14:15], vcc, s[14:15]
	v_mov_b32_e32 v21, v20
	s_andn2_b64 exec, exec, s[14:15]
	s_cbranch_execnz .LBB6_167
; %bb.168:                              ;   in Loop: Header=BB6_17 Depth=1
	s_or_b64 exec, exec, s[14:15]
	flat_load_dword v21, v[18:19] offset:4
	s_mov_b64 s[14:15], 0
.LBB6_169:                              ;   Parent Loop BB6_17 Depth=1
                                        ; =>  This Inner Loop Header: Depth=2
	s_waitcnt vmcnt(0) lgkmcnt(0)
	v_add_f32_e32 v20, v21, v15
	flat_atomic_cmpswap v14, v[18:19], v[20:21] offset:4 glc
	s_waitcnt vmcnt(0) lgkmcnt(0)
	v_cmp_eq_u32_e32 vcc, v14, v21
	s_or_b64 s[14:15], vcc, s[14:15]
	v_mov_b32_e32 v21, v14
	s_andn2_b64 exec, exec, s[14:15]
	s_cbranch_execnz .LBB6_169
; %bb.170:                              ;   in Loop: Header=BB6_17 Depth=1
	s_or_b64 exec, exec, s[14:15]
	flat_load_dword v15, v[18:19] offset:8
	s_mov_b64 s[14:15], 0
.LBB6_171:                              ;   Parent Loop BB6_17 Depth=1
                                        ; =>  This Inner Loop Header: Depth=2
	s_waitcnt vmcnt(0) lgkmcnt(0)
	v_add_f32_e32 v14, v15, v16
	flat_atomic_cmpswap v14, v[18:19], v[14:15] offset:8 glc
	s_waitcnt vmcnt(0) lgkmcnt(0)
	v_cmp_eq_u32_e32 vcc, v14, v15
	s_or_b64 s[14:15], vcc, s[14:15]
	v_mov_b32_e32 v15, v14
	s_andn2_b64 exec, exec, s[14:15]
	s_cbranch_execnz .LBB6_171
	;; [unrolled: 15-line block ×3, first 2 shown]
.LBB6_174:                              ;   in Loop: Header=BB6_17 Depth=1
	s_or_b64 exec, exec, s[12:13]
	v_cmp_ne_u64_e32 vcc, 0, v[34:35]
	s_and_saveexec_b64 s[12:13], vcc
	s_cbranch_execz .LBB6_183
; %bb.175:                              ;   in Loop: Header=BB6_17 Depth=1
	v_lshlrev_b64 v[14:15], 2, v[26:27]
	v_add_co_u32_e32 v14, vcc, v34, v14
	v_addc_co_u32_e32 v15, vcc, v35, v15, vcc
	flat_load_dword v17, v[14:15]
	s_waitcnt vmcnt(0)
	v_pk_mul_f32 v[12:13], v[12:13], v[32:33] op_sel_hi:[1,0]
	v_pk_mul_f32 v[10:11], v[10:11], v[32:33] op_sel_hi:[1,0]
	s_mov_b64 s[14:15], 0
.LBB6_176:                              ;   Parent Loop BB6_17 Depth=1
                                        ; =>  This Inner Loop Header: Depth=2
	s_waitcnt lgkmcnt(0)
	v_add_f32_e32 v16, v17, v10
	flat_atomic_cmpswap v16, v[14:15], v[16:17] glc
	s_waitcnt vmcnt(0) lgkmcnt(0)
	v_cmp_eq_u32_e32 vcc, v16, v17
	s_or_b64 s[14:15], vcc, s[14:15]
	v_mov_b32_e32 v17, v16
	s_andn2_b64 exec, exec, s[14:15]
	s_cbranch_execnz .LBB6_176
; %bb.177:                              ;   in Loop: Header=BB6_17 Depth=1
	s_or_b64 exec, exec, s[14:15]
	flat_load_dword v17, v[14:15] offset:4
	s_mov_b64 s[14:15], 0
.LBB6_178:                              ;   Parent Loop BB6_17 Depth=1
                                        ; =>  This Inner Loop Header: Depth=2
	s_waitcnt vmcnt(0) lgkmcnt(0)
	v_add_f32_e32 v16, v17, v11
	flat_atomic_cmpswap v10, v[14:15], v[16:17] offset:4 glc
	s_waitcnt vmcnt(0) lgkmcnt(0)
	v_cmp_eq_u32_e32 vcc, v10, v17
	s_or_b64 s[14:15], vcc, s[14:15]
	v_mov_b32_e32 v17, v10
	s_andn2_b64 exec, exec, s[14:15]
	s_cbranch_execnz .LBB6_178
; %bb.179:                              ;   in Loop: Header=BB6_17 Depth=1
	s_or_b64 exec, exec, s[14:15]
	flat_load_dword v11, v[14:15] offset:8
	s_mov_b64 s[14:15], 0
.LBB6_180:                              ;   Parent Loop BB6_17 Depth=1
                                        ; =>  This Inner Loop Header: Depth=2
	s_waitcnt vmcnt(0) lgkmcnt(0)
	v_add_f32_e32 v10, v11, v12
	flat_atomic_cmpswap v10, v[14:15], v[10:11] offset:8 glc
	s_waitcnt vmcnt(0) lgkmcnt(0)
	v_cmp_eq_u32_e32 vcc, v10, v11
	s_or_b64 s[14:15], vcc, s[14:15]
	v_mov_b32_e32 v11, v10
	s_andn2_b64 exec, exec, s[14:15]
	s_cbranch_execnz .LBB6_180
	;; [unrolled: 15-line block ×3, first 2 shown]
.LBB6_183:                              ;   in Loop: Header=BB6_17 Depth=1
	s_or_b64 exec, exec, s[12:13]
	v_cmp_ne_u64_e32 vcc, 0, v[24:25]
	s_and_saveexec_b64 s[12:13], vcc
	s_cbranch_execz .LBB6_15
; %bb.184:                              ;   in Loop: Header=BB6_17 Depth=1
	v_lshlrev_b64 v[10:11], 2, v[26:27]
	v_add_co_u32_e32 v10, vcc, v24, v10
	v_addc_co_u32_e32 v11, vcc, v25, v11, vcc
	flat_load_dword v13, v[10:11]
	s_waitcnt vmcnt(0)
	v_pk_mul_f32 v[8:9], v[8:9], v[22:23] op_sel_hi:[1,0]
	v_pk_mul_f32 v[6:7], v[6:7], v[22:23] op_sel_hi:[1,0]
	s_mov_b64 s[14:15], 0
.LBB6_185:                              ;   Parent Loop BB6_17 Depth=1
                                        ; =>  This Inner Loop Header: Depth=2
	s_waitcnt lgkmcnt(0)
	v_add_f32_e32 v12, v13, v6
	flat_atomic_cmpswap v12, v[10:11], v[12:13] glc
	s_waitcnt vmcnt(0) lgkmcnt(0)
	v_cmp_eq_u32_e32 vcc, v12, v13
	s_or_b64 s[14:15], vcc, s[14:15]
	v_mov_b32_e32 v13, v12
	s_andn2_b64 exec, exec, s[14:15]
	s_cbranch_execnz .LBB6_185
; %bb.186:                              ;   in Loop: Header=BB6_17 Depth=1
	s_or_b64 exec, exec, s[14:15]
	flat_load_dword v13, v[10:11] offset:4
	s_mov_b64 s[14:15], 0
.LBB6_187:                              ;   Parent Loop BB6_17 Depth=1
                                        ; =>  This Inner Loop Header: Depth=2
	s_waitcnt vmcnt(0) lgkmcnt(0)
	v_add_f32_e32 v12, v13, v7
	flat_atomic_cmpswap v6, v[10:11], v[12:13] offset:4 glc
	s_waitcnt vmcnt(0) lgkmcnt(0)
	v_cmp_eq_u32_e32 vcc, v6, v13
	s_or_b64 s[14:15], vcc, s[14:15]
	v_mov_b32_e32 v13, v6
	s_andn2_b64 exec, exec, s[14:15]
	s_cbranch_execnz .LBB6_187
; %bb.188:                              ;   in Loop: Header=BB6_17 Depth=1
	s_or_b64 exec, exec, s[14:15]
	flat_load_dword v7, v[10:11] offset:8
	s_mov_b64 s[14:15], 0
.LBB6_189:                              ;   Parent Loop BB6_17 Depth=1
                                        ; =>  This Inner Loop Header: Depth=2
	s_waitcnt vmcnt(0) lgkmcnt(0)
	v_add_f32_e32 v6, v7, v8
	flat_atomic_cmpswap v6, v[10:11], v[6:7] offset:8 glc
	s_waitcnt vmcnt(0) lgkmcnt(0)
	v_cmp_eq_u32_e32 vcc, v6, v7
	s_or_b64 s[14:15], vcc, s[14:15]
	v_mov_b32_e32 v7, v6
	s_andn2_b64 exec, exec, s[14:15]
	s_cbranch_execnz .LBB6_189
; %bb.190:                              ;   in Loop: Header=BB6_17 Depth=1
	s_or_b64 exec, exec, s[14:15]
	flat_load_dword v7, v[10:11] offset:12
	s_mov_b64 s[14:15], 0
.LBB6_191:                              ;   Parent Loop BB6_17 Depth=1
                                        ; =>  This Inner Loop Header: Depth=2
	s_waitcnt vmcnt(0) lgkmcnt(0)
	v_add_f32_e32 v6, v7, v9
	flat_atomic_cmpswap v6, v[10:11], v[6:7] offset:12 glc
	s_waitcnt vmcnt(0) lgkmcnt(0)
	v_cmp_eq_u32_e32 vcc, v6, v7
	s_or_b64 s[14:15], vcc, s[14:15]
	v_mov_b32_e32 v7, v6
	s_andn2_b64 exec, exec, s[14:15]
	s_cbranch_execnz .LBB6_191
	s_branch .LBB6_15
.LBB6_192:
	s_endpgm
	.section	.rodata,"a",@progbits
	.p2align	6, 0x0
	.amdhsa_kernel _Z28moe_mlp2_scatter_mfma_kernelPKiiiPKfS0_S2_PfPK14__hip_bfloat16S6_iixx
		.amdhsa_group_segment_fixed_size 17408
		.amdhsa_private_segment_fixed_size 0
		.amdhsa_kernarg_size 344
		.amdhsa_user_sgpr_count 6
		.amdhsa_user_sgpr_private_segment_buffer 1
		.amdhsa_user_sgpr_dispatch_ptr 0
		.amdhsa_user_sgpr_queue_ptr 0
		.amdhsa_user_sgpr_kernarg_segment_ptr 1
		.amdhsa_user_sgpr_dispatch_id 0
		.amdhsa_user_sgpr_flat_scratch_init 0
		.amdhsa_user_sgpr_kernarg_preload_length 0
		.amdhsa_user_sgpr_kernarg_preload_offset 0
		.amdhsa_user_sgpr_private_segment_size 0
		.amdhsa_uses_dynamic_stack 0
		.amdhsa_system_sgpr_private_segment_wavefront_offset 0
		.amdhsa_system_sgpr_workgroup_id_x 1
		.amdhsa_system_sgpr_workgroup_id_y 1
		.amdhsa_system_sgpr_workgroup_id_z 1
		.amdhsa_system_sgpr_workgroup_info 0
		.amdhsa_system_vgpr_workitem_id 0
		.amdhsa_next_free_vgpr 62
		.amdhsa_next_free_sgpr 67
		.amdhsa_accum_offset 64
		.amdhsa_reserve_vcc 1
		.amdhsa_reserve_flat_scratch 0
		.amdhsa_float_round_mode_32 0
		.amdhsa_float_round_mode_16_64 0
		.amdhsa_float_denorm_mode_32 3
		.amdhsa_float_denorm_mode_16_64 3
		.amdhsa_dx10_clamp 1
		.amdhsa_ieee_mode 1
		.amdhsa_fp16_overflow 0
		.amdhsa_tg_split 0
		.amdhsa_exception_fp_ieee_invalid_op 0
		.amdhsa_exception_fp_denorm_src 0
		.amdhsa_exception_fp_ieee_div_zero 0
		.amdhsa_exception_fp_ieee_overflow 0
		.amdhsa_exception_fp_ieee_underflow 0
		.amdhsa_exception_fp_ieee_inexact 0
		.amdhsa_exception_int_div_zero 0
	.end_amdhsa_kernel
	.text
.Lfunc_end6:
	.size	_Z28moe_mlp2_scatter_mfma_kernelPKiiiPKfS0_S2_PfPK14__hip_bfloat16S6_iixx, .Lfunc_end6-_Z28moe_mlp2_scatter_mfma_kernelPKiiiPKfS0_S2_PfPK14__hip_bfloat16S6_iixx
                                        ; -- End function
	.section	.AMDGPU.csdata,"",@progbits
; Kernel info:
; codeLenInByte = 6008
; NumSgprs: 71
; NumVgprs: 62
; NumAgprs: 0
; TotalNumVgprs: 62
; ScratchSize: 0
; MemoryBound: 0
; FloatMode: 240
; IeeeMode: 1
; LDSByteSize: 17408 bytes/workgroup (compile time only)
; SGPRBlocks: 8
; VGPRBlocks: 7
; NumSGPRsForWavesPerEU: 71
; NumVGPRsForWavesPerEU: 62
; AccumOffset: 64
; Occupancy: 8
; WaveLimiterHint : 1
; COMPUTE_PGM_RSRC2:SCRATCH_EN: 0
; COMPUTE_PGM_RSRC2:USER_SGPR: 6
; COMPUTE_PGM_RSRC2:TRAP_HANDLER: 0
; COMPUTE_PGM_RSRC2:TGID_X_EN: 1
; COMPUTE_PGM_RSRC2:TGID_Y_EN: 1
; COMPUTE_PGM_RSRC2:TGID_Z_EN: 1
; COMPUTE_PGM_RSRC2:TIDIG_COMP_CNT: 0
; COMPUTE_PGM_RSRC3_GFX90A:ACCUM_OFFSET: 15
; COMPUTE_PGM_RSRC3_GFX90A:TG_SPLIT: 0
	.text
	.protected	_Z26moe_mlp2_store_mfma_kernelPKiiiPKfS2_PfPK14__hip_bfloat16S6_iixx ; -- Begin function _Z26moe_mlp2_store_mfma_kernelPKiiiPKfS2_PfPK14__hip_bfloat16S6_iixx
	.globl	_Z26moe_mlp2_store_mfma_kernelPKiiiPKfS2_PfPK14__hip_bfloat16S6_iixx
	.p2align	8
	.type	_Z26moe_mlp2_store_mfma_kernelPKiiiPKfS2_PfPK14__hip_bfloat16S6_iixx,@function
_Z26moe_mlp2_store_mfma_kernelPKiiiPKfS2_PfPK14__hip_bfloat16S6_iixx: ; @_Z26moe_mlp2_store_mfma_kernelPKiiiPKfS2_PfPK14__hip_bfloat16S6_iixx
; %bb.0:
	s_load_dwordx2 s[0:1], s[4:5], 0x8
	s_waitcnt lgkmcnt(0)
	s_cmp_ge_i32 s8, s1
	s_cbranch_scc1 .LBB7_152
; %bb.1:
	s_load_dwordx2 s[2:3], s[4:5], 0x0
	s_load_dwordx2 s[28:29], s[4:5], 0x38
	s_add_i32 s0, s8, s0
	s_mul_i32 s0, s0, 3
	s_ashr_i32 s1, s0, 31
	s_lshl_b64 s[0:1], s[0:1], 2
	s_waitcnt lgkmcnt(0)
	s_add_u32 s2, s2, s0
	s_addc_u32 s3, s3, s1
	s_load_dwordx2 s[30:31], s[2:3], 0x4
	s_cmp_eq_u32 s29, 0
	s_cselect_b64 s[0:1], -1, 0
	s_waitcnt lgkmcnt(0)
	s_cmp_eq_u32 s31, 0
	s_cselect_b64 s[8:9], -1, 0
	s_or_b64 s[0:1], s[0:1], s[8:9]
	s_cmp_eq_u32 s28, 0
	s_cselect_b64 s[8:9], -1, 0
	s_or_b64 s[0:1], s[8:9], s[0:1]
	s_and_b64 vcc, exec, s[0:1]
	s_cbranch_vccnz .LBB7_152
; %bb.2:
	s_load_dword s36, s[2:3], 0x0
	s_load_dwordx2 s[0:1], s[4:5], 0x30
	s_load_dwordx4 s[12:15], s[4:5], 0x40
	s_mov_b64 s[8:9], 0
	s_waitcnt lgkmcnt(0)
	s_ashr_i32 s37, s36, 31
	s_cmp_eq_u64 s[0:1], 0
	s_cbranch_scc1 .LBB7_4
; %bb.3:
	s_mul_i32 s2, s36, s15
	s_mul_hi_u32 s3, s36, s14
	s_add_i32 s2, s3, s2
	s_mul_i32 s3, s37, s14
	s_add_i32 s3, s2, s3
	s_mul_i32 s2, s36, s14
	s_lshl_b64 s[2:3], s[2:3], 1
	s_add_u32 s8, s0, s2
	s_addc_u32 s9, s1, s3
.LBB7_4:
	s_lshl_b32 s52, s7, 8
	s_cmp_lt_i32 s52, s29
	s_cselect_b64 s[0:1], -1, 0
	s_lshl_b32 s51, s6, 6
	s_cmp_lt_i32 s51, s31
	s_cselect_b64 s[2:3], -1, 0
	s_and_b64 s[0:1], s[0:1], s[2:3]
	s_andn2_b64 vcc, exec, s[0:1]
	s_cbranch_vccnz .LBB7_152
; %bb.5:
	v_lshrrev_b32_e32 v2, 2, v0
	v_and_b32_e32 v1, 0xf0, v2
	v_or_b32_e32 v6, s52, v1
	v_and_b32_e32 v46, 12, v2
	s_mov_b32 s16, 0
	v_or_b32_e32 v30, v6, v46
	s_cmp_lg_u64 s[8:9], 0
	s_mov_b32 s17, s16
	s_cselect_b64 s[10:11], -1, 0
	v_cmp_gt_i32_e64 s[0:1], s29, v30
	s_mov_b32 s18, s16
	s_mov_b32 s19, s16
	v_pk_mov_b32 v[2:3], s[16:17], s[16:17] op_sel:[0,1]
	s_and_b64 s[14:15], s[10:11], s[0:1]
	v_pk_mov_b32 v[4:5], s[18:19], s[18:19] op_sel:[0,1]
	s_and_saveexec_b64 s[2:3], s[14:15]
	s_cbranch_execz .LBB7_7
; %bb.6:
	v_ashrrev_i32_e32 v31, 31, v30
	v_lshlrev_b64 v[2:3], 1, v[30:31]
	v_mov_b32_e32 v4, s9
	v_add_co_u32_e32 v2, vcc, s8, v2
	v_addc_co_u32_e32 v3, vcc, v4, v3, vcc
	flat_load_ushort v2, v[2:3]
	v_mov_b32_e32 v3, 0
	v_mov_b32_e32 v4, v3
	;; [unrolled: 1-line block ×3, first 2 shown]
	s_waitcnt vmcnt(0) lgkmcnt(0)
	v_lshlrev_b32_e32 v2, 16, v2
.LBB7_7:
	s_or_b64 exec, exec, s[2:3]
	v_or_b32_e32 v7, 1, v30
	v_cmp_gt_i32_e64 s[2:3], s29, v7
	s_and_b64 s[16:17], s[10:11], s[2:3]
	s_and_saveexec_b64 s[14:15], s[16:17]
	s_cbranch_execz .LBB7_9
; %bb.8:
	v_ashrrev_i32_e32 v31, 31, v30
	v_lshlrev_b64 v[8:9], 1, v[30:31]
	v_mov_b32_e32 v3, s9
	v_add_co_u32_e32 v8, vcc, s8, v8
	v_addc_co_u32_e32 v9, vcc, v3, v9, vcc
	flat_load_ushort v3, v[8:9] offset:2
	s_waitcnt vmcnt(0) lgkmcnt(0)
	v_lshlrev_b32_e32 v3, 16, v3
.LBB7_9:
	s_or_b64 exec, exec, s[14:15]
	v_or_b32_e32 v7, 2, v30
	v_cmp_gt_i32_e64 s[14:15], s29, v7
	s_and_b64 s[18:19], s[10:11], s[14:15]
	s_and_saveexec_b64 s[16:17], s[18:19]
	s_cbranch_execz .LBB7_11
; %bb.10:
	v_ashrrev_i32_e32 v31, 31, v30
	v_lshlrev_b64 v[8:9], 1, v[30:31]
	v_mov_b32_e32 v4, s9
	v_add_co_u32_e32 v8, vcc, s8, v8
	v_addc_co_u32_e32 v9, vcc, v4, v9, vcc
	flat_load_ushort v4, v[8:9] offset:4
	s_waitcnt vmcnt(0) lgkmcnt(0)
	v_lshlrev_b32_e32 v4, 16, v4
.LBB7_11:
	s_or_b64 exec, exec, s[16:17]
	v_or_b32_e32 v7, 3, v30
	v_cmp_gt_i32_e32 vcc, s29, v7
	v_cmp_le_i32_e64 s[18:19], s29, v7
	s_and_b64 s[16:17], s[10:11], vcc
	s_and_saveexec_b64 s[10:11], s[16:17]
	s_cbranch_execz .LBB7_13
; %bb.12:
	v_ashrrev_i32_e32 v31, 31, v30
	v_lshlrev_b64 v[8:9], 1, v[30:31]
	v_mov_b32_e32 v5, s9
	v_add_co_u32_e32 v8, vcc, s8, v8
	v_addc_co_u32_e32 v9, vcc, v5, v9, vcc
	flat_load_ushort v5, v[8:9] offset:6
	s_waitcnt vmcnt(0) lgkmcnt(0)
	v_lshlrev_b32_e32 v5, 16, v5
.LBB7_13:
	s_or_b64 exec, exec, s[10:11]
	s_add_i32 s7, s31, 63
	s_ashr_i32 s8, s7, 31
	s_lshr_b32 s8, s8, 26
	s_add_i32 s7, s7, s8
	s_ashr_i32 s7, s7, 6
	s_add_i32 s8, s31, -1
	s_cmp_lt_u32 s8, 0xffffff81
	s_cselect_b64 s[8:9], -1, 0
	s_cmp_lt_i32 s6, s7
	s_cselect_b64 s[10:11], -1, 0
	s_and_b64 s[8:9], s[8:9], s[10:11]
	s_and_b64 vcc, exec, s[8:9]
	s_cbranch_vccz .LBB7_152
; %bb.14:
	s_load_dwordx8 s[20:27], s[4:5], 0x10
	s_add_i32 s8, s28, 63
	s_ashr_i32 s9, s8, 31
	s_lshr_b32 s9, s9, 26
	s_add_i32 s8, s8, s9
	s_mul_hi_i32 s11, s30, s28
	s_mul_i32 s10, s30, s28
	s_ashr_i32 s33, s8, 6
	s_ashr_i32 s9, s30, 31
	;; [unrolled: 1-line block ×3, first 2 shown]
	s_lshl_b64 s[10:11], s[10:11], 2
	s_mov_b32 s8, s30
	s_waitcnt lgkmcnt(0)
	s_add_u32 s10, s20, s10
	s_addc_u32 s11, s21, s11
	s_lshl_b64 s[34:35], s[8:9], 2
	s_add_u32 s40, s22, s34
	s_mul_hi_i32 s9, s30, s29
	s_mul_i32 s8, s30, s29
	s_addc_u32 s41, s23, s35
	s_lshl_b64 s[8:9], s[8:9], 2
	v_lshlrev_b32_e32 v7, 2, v0
	s_add_u32 s30, s24, s8
	v_and_b32_e32 v8, 60, v7
	v_and_b32_e32 v47, 15, v0
	s_addc_u32 s43, s25, s9
	v_lshlrev_b32_e32 v7, 2, v8
	v_lshrrev_b32_e32 v48, 4, v0
	v_add_co_u32_e32 v49, vcc, s10, v7
	s_movk_i32 s10, 0x44
	s_cmp_gt_i32 s28, 0
	v_or_b32_e32 v6, v6, v47
	s_mov_b32 s42, s29
	v_mov_b32_e32 v9, s11
	v_mad_u32_u24 v51, v48, s10, v8
	s_cselect_b64 s[22:23], -1, 0
	v_cmp_gt_i32_e64 s[10:11], s29, v6
	s_load_dword s29, s[4:5], 0x50
	s_max_i32 s4, s33, 1
	s_add_u32 s44, s40, 64
	s_addc_u32 s45, s41, 0
	s_add_u32 s46, s40, 0x80
	v_addc_co_u32_e32 v50, vcc, 0, v9, vcc
	s_addc_u32 s47, s41, 0
	v_lshlrev_b32_e32 v6, 4, v47
	s_add_u32 s48, s40, 0xc0
	v_mov_b32_e32 v7, s21
	v_add_co_u32_e32 v6, vcc, s20, v6
	s_addc_u32 s49, s41, 0
	s_lshl_b32 s50, s4, 6
	v_addc_co_u32_e32 v7, vcc, 0, v7, vcc
	s_movk_i32 s4, 0x100
	v_add_co_u32_e32 v32, vcc, s4, v6
	s_mul_i32 s4, s12, s37
	s_mul_hi_u32 s5, s12, s36
	s_add_i32 s4, s5, s4
	s_mul_i32 s5, s13, s36
	v_add3_u32 v1, s52, v1, v47
	v_addc_co_u32_e32 v33, vcc, 0, v7, vcc
	s_add_i32 s5, s4, s5
	s_mul_i32 s4, s12, s36
	v_mad_i64_i32 v[6:7], s[12:13], s28, v1, 0
	s_lshl_b64 s[4:5], s[4:5], 1
	v_lshlrev_b64 v[6:7], 1, v[6:7]
	v_mov_b32_e32 v1, s5
	v_add_co_u32_e32 v6, vcc, s4, v6
	v_lshrrev_b32_e32 v0, 1, v0
	v_addc_co_u32_e32 v1, vcc, v1, v7, vcc
	v_and_b32_e32 v0, 24, v0
	v_add_co_u32_e32 v0, vcc, v6, v0
	v_addc_co_u32_e32 v1, vcc, 0, v1, vcc
	v_mov_b32_e32 v6, s27
	v_add_co_u32_e32 v0, vcc, s26, v0
	v_addc_co_u32_e32 v1, vcc, v1, v6, vcc
	s_movk_i32 s4, 0x64
	v_add_co_u32_e32 v0, vcc, s4, v0
	s_mov_b32 s39, s28
	v_cmp_gt_i32_e64 s[8:9], s28, v8
	v_lshlrev_b32_e32 v52, 1, v51
	v_ashrrev_i32_e32 v31, 31, v30
	v_mul_u32_u24_e32 v53, 0x88, v47
	v_add_u32_e32 v34, s51, v48
	s_waitcnt lgkmcnt(0)
	s_lshl_b32 s51, s29, 6
	v_addc_co_u32_e32 v1, vcc, 0, v1, vcc
	v_or_b32_e32 v54, 64, v8
	s_mov_b32 s52, 0x7f800000
	s_movk_i32 s53, 0x7fff
	s_mov_b32 s54, 0xffff
	s_mov_b32 s55, 0x7060302
	;; [unrolled: 1-line block ×3, first 2 shown]
	v_mov_b32_e32 v55, 0
	s_branch .LBB7_17
.LBB7_15:                               ;   in Loop: Header=BB7_17 Depth=1
	s_or_b64 exec, exec, s[12:13]
.LBB7_16:                               ;   in Loop: Header=BB7_17 Depth=1
	s_or_b64 exec, exec, s[4:5]
	s_add_i32 s6, s29, s6
	s_cmp_lt_i32 s6, s7
	v_add_u32_e32 v34, s51, v34
	s_waitcnt lgkmcnt(0)
	s_barrier
	s_cbranch_scc0 .LBB7_152
.LBB7_17:                               ; =>This Loop Header: Depth=1
                                        ;     Child Loop BB7_39 Depth 2
	s_lshl_b32 s24, s6, 6
	v_or_b32_e32 v8, s24, v48
	v_cmp_gt_i32_e64 s[12:13], s31, v8
	s_and_b64 s[16:17], s[12:13], s[8:9]
	v_mov_b32_e32 v7, 0
	v_mov_b32_e32 v6, 0
	s_and_saveexec_b64 s[4:5], s[16:17]
	s_cbranch_execz .LBB7_35
; %bb.18:                               ;   in Loop: Header=BB7_17 Depth=1
	v_mad_i64_i32 v[6:7], s[16:17], v8, s39, 0
	v_lshlrev_b64 v[6:7], 2, v[6:7]
	v_add_co_u32_e32 v6, vcc, v49, v6
	v_addc_co_u32_e32 v7, vcc, v50, v7, vcc
	global_load_dwordx4 v[6:9], v[6:7], off
	s_waitcnt vmcnt(0)
	v_and_b32_e32 v10, 0x7f800000, v6
	v_cmp_ne_u32_e32 vcc, s52, v10
                                        ; implicit-def: $vgpr10
	s_and_saveexec_b64 s[16:17], vcc
	s_xor_b64 s[16:17], exec, s[16:17]
; %bb.19:                               ;   in Loop: Header=BB7_17 Depth=1
	v_bfe_u32 v10, v6, 16, 1
	v_add3_u32 v10, v6, v10, s53
; %bb.20:                               ;   in Loop: Header=BB7_17 Depth=1
	s_andn2_saveexec_b64 s[16:17], s[16:17]
; %bb.21:                               ;   in Loop: Header=BB7_17 Depth=1
	v_or_b32_e32 v10, 0x10000, v6
	v_cmp_eq_u32_sdwa vcc, v6, v55 src0_sel:WORD_0 src1_sel:DWORD
	v_cndmask_b32_e32 v10, v10, v6, vcc
; %bb.22:                               ;   in Loop: Header=BB7_17 Depth=1
	s_or_b64 exec, exec, s[16:17]
	v_and_b32_e32 v6, 0x7f800000, v7
	v_cmp_ne_u32_e32 vcc, s52, v6
                                        ; implicit-def: $vgpr11
	s_and_saveexec_b64 s[16:17], vcc
	s_xor_b64 s[16:17], exec, s[16:17]
; %bb.23:                               ;   in Loop: Header=BB7_17 Depth=1
	v_bfe_u32 v6, v7, 16, 1
	v_add3_u32 v11, v7, v6, s53
; %bb.24:                               ;   in Loop: Header=BB7_17 Depth=1
	s_andn2_saveexec_b64 s[16:17], s[16:17]
; %bb.25:                               ;   in Loop: Header=BB7_17 Depth=1
	v_or_b32_e32 v6, 0x10000, v7
	v_cmp_eq_u32_sdwa vcc, v7, v55 src0_sel:WORD_0 src1_sel:DWORD
	v_cndmask_b32_e32 v11, v6, v7, vcc
; %bb.26:                               ;   in Loop: Header=BB7_17 Depth=1
	s_or_b64 exec, exec, s[16:17]
	v_and_b32_e32 v6, 0x7f800000, v8
	v_cmp_ne_u32_e32 vcc, s52, v6
                                        ; implicit-def: $vgpr12
	s_and_saveexec_b64 s[16:17], vcc
	s_xor_b64 s[16:17], exec, s[16:17]
; %bb.27:                               ;   in Loop: Header=BB7_17 Depth=1
	v_bfe_u32 v6, v8, 16, 1
	v_add3_u32 v12, v8, v6, s53
; %bb.28:                               ;   in Loop: Header=BB7_17 Depth=1
	s_andn2_saveexec_b64 s[16:17], s[16:17]
; %bb.29:                               ;   in Loop: Header=BB7_17 Depth=1
	v_or_b32_e32 v6, 0x10000, v8
	v_cmp_eq_u32_sdwa vcc, v8, v55 src0_sel:WORD_0 src1_sel:DWORD
	v_cndmask_b32_e32 v12, v6, v8, vcc
; %bb.30:                               ;   in Loop: Header=BB7_17 Depth=1
	s_or_b64 exec, exec, s[16:17]
	v_and_b32_e32 v6, 0x7f800000, v9
	v_cmp_ne_u32_e32 vcc, s52, v6
                                        ; implicit-def: $vgpr13
	s_and_saveexec_b64 s[16:17], vcc
	s_xor_b64 s[16:17], exec, s[16:17]
; %bb.31:                               ;   in Loop: Header=BB7_17 Depth=1
	v_bfe_u32 v6, v9, 16, 1
	v_add3_u32 v13, v9, v6, s53
                                        ; implicit-def: $vgpr6_vgpr7_vgpr8_vgpr9
; %bb.32:                               ;   in Loop: Header=BB7_17 Depth=1
	s_andn2_saveexec_b64 s[16:17], s[16:17]
; %bb.33:                               ;   in Loop: Header=BB7_17 Depth=1
	v_or_b32_e32 v6, 0x10000, v9
	v_cmp_eq_u32_sdwa vcc, v9, v55 src0_sel:WORD_0 src1_sel:DWORD
	v_cndmask_b32_e32 v13, v6, v9, vcc
; %bb.34:                               ;   in Loop: Header=BB7_17 Depth=1
	s_or_b64 exec, exec, s[16:17]
	v_perm_b32 v6, v11, v10, s55
	v_perm_b32 v7, v13, v12, s55
.LBB7_35:                               ;   in Loop: Header=BB7_17 Depth=1
	s_or_b64 exec, exec, s[4:5]
	ds_write_b64 v52, v[6:7]
	v_pk_mov_b32 v[20:21], v[4:5], v[4:5] op_sel:[0,1]
	v_pk_mov_b32 v[16:17], v[4:5], v[4:5] op_sel:[0,1]
	v_pk_mov_b32 v[12:13], v[4:5], v[4:5] op_sel:[0,1]
	v_pk_mov_b32 v[8:9], v[4:5], v[4:5] op_sel:[0,1]
	s_andn2_b64 vcc, exec, s[22:23]
	v_pk_mov_b32 v[18:19], v[2:3], v[2:3] op_sel:[0,1]
	v_pk_mov_b32 v[14:15], v[2:3], v[2:3] op_sel:[0,1]
	;; [unrolled: 1-line block ×4, first 2 shown]
	s_waitcnt lgkmcnt(0)
	s_barrier
	s_cbranch_vccnz .LBB7_106
; %bb.36:                               ;   in Loop: Header=BB7_17 Depth=1
	v_ashrrev_i32_e32 v35, 31, v34
	v_lshlrev_b64 v[6:7], 2, v[34:35]
	v_mov_b32_e32 v8, s35
	v_add_co_u32_e32 v6, vcc, s34, v6
	v_addc_co_u32_e32 v7, vcc, v8, v7, vcc
	v_mul_lo_u32 v7, s39, v7
	v_mul_lo_u32 v8, s38, v6
	s_waitcnt vmcnt(0)
	v_mad_u64_u32 v[36:37], s[4:5], s39, v6, v[32:33]
	v_add3_u32 v37, v8, v37, v7
	v_pk_mov_b32 v[20:21], v[4:5], v[4:5] op_sel:[0,1]
	v_pk_mov_b32 v[16:17], v[4:5], v[4:5] op_sel:[0,1]
	v_pk_mov_b32 v[12:13], v[4:5], v[4:5] op_sel:[0,1]
	v_pk_mov_b32 v[8:9], v[4:5], v[4:5] op_sel:[0,1]
	s_mov_b32 s25, 0
	s_mov_b32 s26, 1
	v_pk_mov_b32 v[38:39], v[0:1], v[0:1] op_sel:[0,1]
	v_pk_mov_b32 v[18:19], v[2:3], v[2:3] op_sel:[0,1]
	;; [unrolled: 1-line block ×5, first 2 shown]
	s_branch .LBB7_39
.LBB7_37:                               ;   in Loop: Header=BB7_39 Depth=2
	s_or_b64 exec, exec, s[16:17]
.LBB7_38:                               ;   in Loop: Header=BB7_39 Depth=2
	s_or_b64 exec, exec, s[4:5]
	s_nop 1
	ds_read_b64 v[14:15], v56 offset:96
	ds_read_b64 v[16:17], v42 offset:96
	;; [unrolled: 1-line block ×4, first 2 shown]
	v_add_co_u32_e32 v36, vcc, 0x100, v36
	s_waitcnt vmcnt(0) lgkmcnt(3)
	v_mfma_f32_16x16x16bf16_1k v[18:21], v[40:41], v[14:15], v[22:25]
	v_addc_co_u32_e32 v37, vcc, 0, v37, vcc
	s_add_i32 s25, s25, 64
	s_add_i32 s26, s26, 1
	v_add_co_u32_e32 v38, vcc, 0x80, v38
	v_addc_co_u32_e32 v39, vcc, 0, v39, vcc
	s_waitcnt lgkmcnt(2)
	v_mfma_f32_16x16x16bf16_1k v[14:17], v[40:41], v[16:17], v[26:29]
	s_cmp_eq_u32 s50, s25
	s_waitcnt lgkmcnt(0)
	s_barrier
	v_mfma_f32_16x16x16bf16_1k v[10:13], v[40:41], v[42:43], v[10:13]
	v_mfma_f32_16x16x16bf16_1k v[6:9], v[40:41], v[44:45], v[6:9]
	s_cbranch_scc1 .LBB7_106
.LBB7_39:                               ;   Parent Loop BB7_17 Depth=1
                                        ; =>  This Inner Loop Header: Depth=2
	s_add_i32 s4, s26, -1
	s_and_b32 s27, s4, 1
	s_cmp_ge_i32 s26, s33
	s_cbranch_scc1 .LBB7_59
; %bb.40:                               ;   in Loop: Header=BB7_39 Depth=2
	v_add_u32_e32 v22, s25, v54
	v_cmp_gt_i32_e32 vcc, s28, v22
	s_and_b64 s[16:17], s[12:13], vcc
	v_mov_b32_e32 v23, 0
	v_mov_b32_e32 v22, 0
	s_and_saveexec_b64 s[4:5], s[16:17]
	s_cbranch_execz .LBB7_58
; %bb.41:                               ;   in Loop: Header=BB7_39 Depth=2
	global_load_dwordx4 v[22:25], v[36:37], off
	s_waitcnt vmcnt(0)
	v_and_b32_e32 v26, 0x7f800000, v22
	v_cmp_ne_u32_e32 vcc, s52, v26
                                        ; implicit-def: $vgpr26
	s_and_saveexec_b64 s[16:17], vcc
	s_xor_b64 s[16:17], exec, s[16:17]
; %bb.42:                               ;   in Loop: Header=BB7_39 Depth=2
	v_bfe_u32 v26, v22, 16, 1
	v_add3_u32 v26, v22, v26, s53
; %bb.43:                               ;   in Loop: Header=BB7_39 Depth=2
	s_andn2_saveexec_b64 s[16:17], s[16:17]
; %bb.44:                               ;   in Loop: Header=BB7_39 Depth=2
	v_or_b32_e32 v26, 0x10000, v22
	v_cmp_eq_u32_sdwa vcc, v22, v55 src0_sel:WORD_0 src1_sel:DWORD
	v_cndmask_b32_e32 v26, v26, v22, vcc
; %bb.45:                               ;   in Loop: Header=BB7_39 Depth=2
	s_or_b64 exec, exec, s[16:17]
	v_and_b32_e32 v22, 0x7f800000, v23
	v_cmp_ne_u32_e32 vcc, s52, v22
                                        ; implicit-def: $vgpr27
	s_and_saveexec_b64 s[16:17], vcc
	s_xor_b64 s[16:17], exec, s[16:17]
; %bb.46:                               ;   in Loop: Header=BB7_39 Depth=2
	v_bfe_u32 v22, v23, 16, 1
	v_add3_u32 v27, v23, v22, s53
; %bb.47:                               ;   in Loop: Header=BB7_39 Depth=2
	s_andn2_saveexec_b64 s[16:17], s[16:17]
; %bb.48:                               ;   in Loop: Header=BB7_39 Depth=2
	v_or_b32_e32 v22, 0x10000, v23
	v_cmp_eq_u32_sdwa vcc, v23, v55 src0_sel:WORD_0 src1_sel:DWORD
	v_cndmask_b32_e32 v27, v22, v23, vcc
; %bb.49:                               ;   in Loop: Header=BB7_39 Depth=2
	s_or_b64 exec, exec, s[16:17]
	v_and_b32_e32 v22, 0x7f800000, v24
	v_cmp_ne_u32_e32 vcc, s52, v22
                                        ; implicit-def: $vgpr28
	s_and_saveexec_b64 s[16:17], vcc
	s_xor_b64 s[16:17], exec, s[16:17]
; %bb.50:                               ;   in Loop: Header=BB7_39 Depth=2
	v_bfe_u32 v22, v24, 16, 1
	v_add3_u32 v28, v24, v22, s53
; %bb.51:                               ;   in Loop: Header=BB7_39 Depth=2
	s_andn2_saveexec_b64 s[16:17], s[16:17]
; %bb.52:                               ;   in Loop: Header=BB7_39 Depth=2
	v_or_b32_e32 v22, 0x10000, v24
	v_cmp_eq_u32_sdwa vcc, v24, v55 src0_sel:WORD_0 src1_sel:DWORD
	v_cndmask_b32_e32 v28, v22, v24, vcc
; %bb.53:                               ;   in Loop: Header=BB7_39 Depth=2
	s_or_b64 exec, exec, s[16:17]
	v_and_b32_e32 v22, 0x7f800000, v25
	v_cmp_ne_u32_e32 vcc, s52, v22
                                        ; implicit-def: $vgpr29
	s_and_saveexec_b64 s[16:17], vcc
	s_xor_b64 s[16:17], exec, s[16:17]
; %bb.54:                               ;   in Loop: Header=BB7_39 Depth=2
	v_bfe_u32 v22, v25, 16, 1
	v_add3_u32 v29, v25, v22, s53
                                        ; implicit-def: $vgpr22_vgpr23_vgpr24_vgpr25
; %bb.55:                               ;   in Loop: Header=BB7_39 Depth=2
	s_andn2_saveexec_b64 s[16:17], s[16:17]
; %bb.56:                               ;   in Loop: Header=BB7_39 Depth=2
	v_or_b32_e32 v22, 0x10000, v25
	v_cmp_eq_u32_sdwa vcc, v25, v55 src0_sel:WORD_0 src1_sel:DWORD
	v_cndmask_b32_e32 v29, v22, v25, vcc
; %bb.57:                               ;   in Loop: Header=BB7_39 Depth=2
	s_or_b64 exec, exec, s[16:17]
	v_perm_b32 v22, v27, v26, s55
	v_perm_b32 v23, v29, v28, s55
.LBB7_58:                               ;   in Loop: Header=BB7_39 Depth=2
	s_or_b64 exec, exec, s[4:5]
	s_xor_b32 s4, s27, 1
	s_mulk_i32 s4, 0x2200
	v_lshl_add_u32 v24, v51, 1, s4
	ds_write_b64 v24, v[22:23]
.LBB7_59:                               ;   in Loop: Header=BB7_39 Depth=2
	v_add_u32_e32 v35, s25, v46
	v_mov_b32_e32 v42, 0
	v_mov_b32_e32 v40, 0
	;; [unrolled: 1-line block ×3, first 2 shown]
	s_and_saveexec_b64 s[4:5], s[10:11]
	s_cbranch_execz .LBB7_71
; %bb.60:                               ;   in Loop: Header=BB7_39 Depth=2
	v_add_u32_e32 v22, 3, v35
	v_cmp_le_i32_e32 vcc, s28, v22
                                        ; implicit-def: $vgpr41
	s_and_saveexec_b64 s[16:17], vcc
	s_xor_b64 s[16:17], exec, s[16:17]
	s_cbranch_execz .LBB7_68
; %bb.61:                               ;   in Loop: Header=BB7_39 Depth=2
	v_cmp_gt_i32_e32 vcc, s28, v35
	v_mov_b32_e32 v41, 0
	v_mov_b32_e32 v40, 0
	s_and_saveexec_b64 s[20:21], vcc
	s_cbranch_execz .LBB7_63
; %bb.62:                               ;   in Loop: Header=BB7_39 Depth=2
	global_load_ushort v22, v[38:39], off offset:-100
	s_waitcnt vmcnt(0)
	v_and_b32_e32 v40, 0xffff, v22
.LBB7_63:                               ;   in Loop: Header=BB7_39 Depth=2
	s_or_b64 exec, exec, s[20:21]
	v_add_u32_e32 v22, 1, v35
	v_cmp_gt_i32_e32 vcc, s28, v22
	s_and_saveexec_b64 s[20:21], vcc
	s_cbranch_execz .LBB7_65
; %bb.64:                               ;   in Loop: Header=BB7_39 Depth=2
	global_load_ushort v22, v[38:39], off offset:-98
	s_waitcnt vmcnt(0)
	v_perm_b32 v40, v22, v40, s56
.LBB7_65:                               ;   in Loop: Header=BB7_39 Depth=2
	s_or_b64 exec, exec, s[20:21]
	v_add_u32_e32 v22, 2, v35
	v_cmp_gt_i32_e32 vcc, s28, v22
	s_and_saveexec_b64 s[20:21], vcc
	s_cbranch_execz .LBB7_67
; %bb.66:                               ;   in Loop: Header=BB7_39 Depth=2
	global_load_ushort v22, v[38:39], off offset:-96
	s_waitcnt vmcnt(0)
	v_bfi_b32 v41, s54, v22, v41
.LBB7_67:                               ;   in Loop: Header=BB7_39 Depth=2
	s_or_b64 exec, exec, s[20:21]
.LBB7_68:                               ;   in Loop: Header=BB7_39 Depth=2
	s_andn2_saveexec_b64 s[16:17], s[16:17]
	s_cbranch_execz .LBB7_70
; %bb.69:                               ;   in Loop: Header=BB7_39 Depth=2
	global_load_dwordx2 v[40:41], v[38:39], off offset:-100
.LBB7_70:                               ;   in Loop: Header=BB7_39 Depth=2
	s_or_b64 exec, exec, s[16:17]
.LBB7_71:                               ;   in Loop: Header=BB7_39 Depth=2
	s_or_b64 exec, exec, s[4:5]
	s_mulk_i32 s27, 0x2200
	v_add_u32_e32 v22, s27, v53
	v_lshl_add_u32 v56, v46, 1, v22
	ds_read_b64 v[22:23], v56
	ds_read_b64 v[26:27], v56 offset:2176
	ds_read_b64 v[28:29], v56 offset:4352
	;; [unrolled: 1-line block ×3, first 2 shown]
	v_mov_b32_e32 v43, 0
	s_waitcnt vmcnt(0) lgkmcnt(3)
	v_mfma_f32_16x16x16bf16_1k v[22:25], v[40:41], v[22:23], v[18:21]
	s_waitcnt lgkmcnt(2)
	v_mfma_f32_16x16x16bf16_1k v[14:17], v[40:41], v[26:27], v[14:17]
	s_waitcnt lgkmcnt(1)
	;; [unrolled: 2-line block ×3, first 2 shown]
	v_mfma_f32_16x16x16bf16_1k v[18:21], v[40:41], v[44:45], v[6:9]
	s_and_saveexec_b64 s[4:5], s[10:11]
	s_cbranch_execz .LBB7_83
; %bb.72:                               ;   in Loop: Header=BB7_39 Depth=2
	s_nop 4
	v_add_u32_e32 v6, 19, v35
	v_cmp_le_i32_e32 vcc, s28, v6
                                        ; implicit-def: $vgpr43
	s_and_saveexec_b64 s[16:17], vcc
	s_xor_b64 s[16:17], exec, s[16:17]
	s_cbranch_execz .LBB7_80
; %bb.73:                               ;   in Loop: Header=BB7_39 Depth=2
	v_add_u32_e32 v6, 16, v35
	v_cmp_gt_i32_e32 vcc, s28, v6
	v_mov_b32_e32 v43, 0
	v_mov_b32_e32 v42, 0
	s_and_saveexec_b64 s[20:21], vcc
	s_cbranch_execz .LBB7_75
; %bb.74:                               ;   in Loop: Header=BB7_39 Depth=2
	global_load_ushort v6, v[38:39], off offset:-68
	s_waitcnt vmcnt(0)
	v_and_b32_e32 v42, 0xffff, v6
.LBB7_75:                               ;   in Loop: Header=BB7_39 Depth=2
	s_or_b64 exec, exec, s[20:21]
	v_add_u32_e32 v6, 17, v35
	v_cmp_gt_i32_e32 vcc, s28, v6
	s_and_saveexec_b64 s[20:21], vcc
	s_cbranch_execz .LBB7_77
; %bb.76:                               ;   in Loop: Header=BB7_39 Depth=2
	global_load_ushort v6, v[38:39], off offset:-66
	s_waitcnt vmcnt(0)
	v_perm_b32 v42, v6, v42, s56
.LBB7_77:                               ;   in Loop: Header=BB7_39 Depth=2
	s_or_b64 exec, exec, s[20:21]
	v_add_u32_e32 v6, 18, v35
	v_cmp_gt_i32_e32 vcc, s28, v6
	s_and_saveexec_b64 s[20:21], vcc
	s_cbranch_execz .LBB7_79
; %bb.78:                               ;   in Loop: Header=BB7_39 Depth=2
	global_load_ushort v6, v[38:39], off offset:-64
	s_waitcnt vmcnt(0)
	v_bfi_b32 v43, s54, v6, v43
.LBB7_79:                               ;   in Loop: Header=BB7_39 Depth=2
	s_or_b64 exec, exec, s[20:21]
.LBB7_80:                               ;   in Loop: Header=BB7_39 Depth=2
	s_andn2_saveexec_b64 s[16:17], s[16:17]
	s_cbranch_execz .LBB7_82
; %bb.81:                               ;   in Loop: Header=BB7_39 Depth=2
	global_load_dwordx2 v[42:43], v[38:39], off offset:-68
.LBB7_82:                               ;   in Loop: Header=BB7_39 Depth=2
	s_or_b64 exec, exec, s[16:17]
.LBB7_83:                               ;   in Loop: Header=BB7_39 Depth=2
	s_or_b64 exec, exec, s[4:5]
	s_nop 3
	ds_read_b64 v[6:7], v56 offset:32
	ds_read_b64 v[10:11], v56 offset:2208
	;; [unrolled: 1-line block ×4, first 2 shown]
	v_mov_b32_e32 v44, 0
	s_waitcnt vmcnt(0) lgkmcnt(3)
	v_mfma_f32_16x16x16bf16_1k v[6:9], v[42:43], v[6:7], v[22:25]
	v_mov_b32_e32 v45, 0
	s_waitcnt lgkmcnt(2)
	v_mfma_f32_16x16x16bf16_1k v[10:13], v[42:43], v[10:11], v[14:17]
	s_waitcnt lgkmcnt(1)
	v_mfma_f32_16x16x16bf16_1k v[14:17], v[42:43], v[40:41], v[26:29]
	v_mov_b32_e32 v40, 0
	s_waitcnt lgkmcnt(0)
	v_mfma_f32_16x16x16bf16_1k v[18:21], v[42:43], v[58:59], v[18:21]
	s_and_saveexec_b64 s[4:5], s[10:11]
	s_cbranch_execz .LBB7_95
; %bb.84:                               ;   in Loop: Header=BB7_39 Depth=2
	v_add_u32_e32 v22, 35, v35
	v_cmp_le_i32_e32 vcc, s28, v22
                                        ; implicit-def: $vgpr45
	s_and_saveexec_b64 s[16:17], vcc
	s_xor_b64 s[16:17], exec, s[16:17]
	s_cbranch_execz .LBB7_92
; %bb.85:                               ;   in Loop: Header=BB7_39 Depth=2
	v_add_u32_e32 v22, 32, v35
	v_cmp_gt_i32_e32 vcc, s28, v22
	v_mov_b32_e32 v45, 0
	v_mov_b32_e32 v44, 0
	s_and_saveexec_b64 s[20:21], vcc
	s_cbranch_execz .LBB7_87
; %bb.86:                               ;   in Loop: Header=BB7_39 Depth=2
	global_load_ushort v22, v[38:39], off offset:-36
	s_waitcnt vmcnt(0)
	v_and_b32_e32 v44, 0xffff, v22
.LBB7_87:                               ;   in Loop: Header=BB7_39 Depth=2
	s_or_b64 exec, exec, s[20:21]
	v_add_u32_e32 v22, 33, v35
	v_cmp_gt_i32_e32 vcc, s28, v22
	s_and_saveexec_b64 s[20:21], vcc
	s_cbranch_execz .LBB7_89
; %bb.88:                               ;   in Loop: Header=BB7_39 Depth=2
	global_load_ushort v22, v[38:39], off offset:-34
	s_waitcnt vmcnt(0)
	v_perm_b32 v44, v22, v44, s56
.LBB7_89:                               ;   in Loop: Header=BB7_39 Depth=2
	s_or_b64 exec, exec, s[20:21]
	v_add_u32_e32 v22, 34, v35
	v_cmp_gt_i32_e32 vcc, s28, v22
	s_and_saveexec_b64 s[20:21], vcc
	s_cbranch_execz .LBB7_91
; %bb.90:                               ;   in Loop: Header=BB7_39 Depth=2
	global_load_ushort v22, v[38:39], off offset:-32
	s_waitcnt vmcnt(0)
	v_bfi_b32 v45, s54, v22, v45
.LBB7_91:                               ;   in Loop: Header=BB7_39 Depth=2
	s_or_b64 exec, exec, s[20:21]
.LBB7_92:                               ;   in Loop: Header=BB7_39 Depth=2
	s_andn2_saveexec_b64 s[16:17], s[16:17]
	s_cbranch_execz .LBB7_94
; %bb.93:                               ;   in Loop: Header=BB7_39 Depth=2
	global_load_dwordx2 v[44:45], v[38:39], off offset:-36
.LBB7_94:                               ;   in Loop: Header=BB7_39 Depth=2
	s_or_b64 exec, exec, s[16:17]
.LBB7_95:                               ;   in Loop: Header=BB7_39 Depth=2
	s_or_b64 exec, exec, s[4:5]
	v_add_u32_e32 v42, 0x880, v56
	v_add_u32_e32 v43, 0x1100, v56
	ds_read_b64 v[22:23], v56 offset:64
	v_add_u32_e32 v57, 0x1980, v56
	ds_read_b64 v[26:27], v42 offset:64
	ds_read_b64 v[58:59], v43 offset:64
	;; [unrolled: 1-line block ×3, first 2 shown]
	s_waitcnt vmcnt(0) lgkmcnt(3)
	v_mfma_f32_16x16x16bf16_1k v[22:25], v[44:45], v[22:23], v[6:9]
	v_mov_b32_e32 v41, 0
	s_waitcnt lgkmcnt(2)
	v_mfma_f32_16x16x16bf16_1k v[26:29], v[44:45], v[26:27], v[10:13]
	s_waitcnt lgkmcnt(1)
	v_mfma_f32_16x16x16bf16_1k v[10:13], v[44:45], v[58:59], v[14:17]
	;; [unrolled: 2-line block ×3, first 2 shown]
	s_and_saveexec_b64 s[4:5], s[10:11]
	s_cbranch_execz .LBB7_38
; %bb.96:                               ;   in Loop: Header=BB7_39 Depth=2
	s_nop 2
	v_add_u32_e32 v14, 51, v35
	v_cmp_le_i32_e32 vcc, s28, v14
                                        ; implicit-def: $vgpr41
	s_and_saveexec_b64 s[16:17], vcc
	s_xor_b64 s[16:17], exec, s[16:17]
	s_cbranch_execz .LBB7_104
; %bb.97:                               ;   in Loop: Header=BB7_39 Depth=2
	v_add_u32_e32 v14, 48, v35
	v_cmp_gt_i32_e32 vcc, s28, v14
	v_mov_b32_e32 v41, 0
	v_mov_b32_e32 v40, 0
	s_and_saveexec_b64 s[20:21], vcc
	s_cbranch_execz .LBB7_99
; %bb.98:                               ;   in Loop: Header=BB7_39 Depth=2
	global_load_ushort v14, v[38:39], off offset:-4
	s_waitcnt vmcnt(0)
	v_and_b32_e32 v40, 0xffff, v14
.LBB7_99:                               ;   in Loop: Header=BB7_39 Depth=2
	s_or_b64 exec, exec, s[20:21]
	v_add_u32_e32 v14, 49, v35
	v_cmp_gt_i32_e32 vcc, s28, v14
	s_and_saveexec_b64 s[20:21], vcc
	s_cbranch_execz .LBB7_101
; %bb.100:                              ;   in Loop: Header=BB7_39 Depth=2
	global_load_ushort v14, v[38:39], off offset:-2
	s_waitcnt vmcnt(0)
	v_perm_b32 v40, v14, v40, s56
.LBB7_101:                              ;   in Loop: Header=BB7_39 Depth=2
	s_or_b64 exec, exec, s[20:21]
	v_add_u32_e32 v14, 50, v35
	v_cmp_gt_i32_e32 vcc, s28, v14
	s_and_saveexec_b64 s[20:21], vcc
	s_cbranch_execz .LBB7_103
; %bb.102:                              ;   in Loop: Header=BB7_39 Depth=2
	global_load_ushort v14, v[38:39], off
	s_waitcnt vmcnt(0)
	v_bfi_b32 v41, s54, v14, v41
.LBB7_103:                              ;   in Loop: Header=BB7_39 Depth=2
	s_or_b64 exec, exec, s[20:21]
.LBB7_104:                              ;   in Loop: Header=BB7_39 Depth=2
	s_andn2_saveexec_b64 s[16:17], s[16:17]
	s_cbranch_execz .LBB7_37
; %bb.105:                              ;   in Loop: Header=BB7_39 Depth=2
	global_load_dwordx2 v[40:41], v[38:39], off offset:-4
	s_branch .LBB7_37
.LBB7_106:                              ;   in Loop: Header=BB7_17 Depth=1
	v_or_b32_e32 v44, s24, v47
	v_pk_mov_b32 v[28:29], 0, 0
	v_cmp_gt_i32_e32 vcc, s31, v44
	s_waitcnt vmcnt(0)
	v_mov_b32_e32 v24, 0
	v_pk_mov_b32 v[42:43], v[28:29], v[28:29] op_sel:[0,1]
	v_mov_b32_e32 v38, 0
	s_and_saveexec_b64 s[4:5], vcc
	s_cbranch_execz .LBB7_108
; %bb.107:                              ;   in Loop: Header=BB7_17 Depth=1
	v_ashrrev_i32_e32 v45, 31, v44
	v_lshlrev_b64 v[22:23], 2, v[44:45]
	v_mov_b32_e32 v25, s41
	v_add_co_u32_e32 v22, vcc, s40, v22
	v_addc_co_u32_e32 v23, vcc, v25, v23, vcc
	global_load_dword v38, v[22:23], off
	v_mad_i64_i32 v[22:23], s[12:13], v44, s42, 0
	v_lshlrev_b64 v[22:23], 2, v[22:23]
	v_mov_b32_e32 v25, s43
	v_add_co_u32_e32 v42, vcc, s30, v22
	v_addc_co_u32_e32 v43, vcc, v25, v23, vcc
.LBB7_108:                              ;   in Loop: Header=BB7_17 Depth=1
	s_or_b64 exec, exec, s[4:5]
	v_or_b32_e32 v22, 16, v44
	v_cmp_gt_i32_e32 vcc, s31, v22
	s_and_saveexec_b64 s[4:5], vcc
	s_cbranch_execz .LBB7_110
; %bb.109:                              ;   in Loop: Header=BB7_17 Depth=1
	v_ashrrev_i32_e32 v45, 31, v44
	v_lshlrev_b64 v[24:25], 2, v[44:45]
	v_mov_b32_e32 v23, s45
	v_add_co_u32_e32 v24, vcc, s44, v24
	v_addc_co_u32_e32 v25, vcc, v23, v25, vcc
	global_load_dword v24, v[24:25], off
	v_mad_i64_i32 v[22:23], s[12:13], v22, s42, 0
	v_lshlrev_b64 v[22:23], 2, v[22:23]
	v_mov_b32_e32 v25, s43
	v_add_co_u32_e32 v28, vcc, s30, v22
	v_addc_co_u32_e32 v29, vcc, v25, v23, vcc
.LBB7_110:                              ;   in Loop: Header=BB7_17 Depth=1
	s_or_b64 exec, exec, s[4:5]
	v_or_b32_e32 v23, 32, v44
	v_pk_mov_b32 v[26:27], 0, 0
	v_cmp_gt_i32_e32 vcc, s31, v23
	v_mov_b32_e32 v22, 0
	v_pk_mov_b32 v[40:41], v[26:27], v[26:27] op_sel:[0,1]
	v_mov_b32_e32 v36, 0
	s_and_saveexec_b64 s[4:5], vcc
	s_cbranch_execz .LBB7_112
; %bb.111:                              ;   in Loop: Header=BB7_17 Depth=1
	v_ashrrev_i32_e32 v45, 31, v44
	v_lshlrev_b64 v[36:37], 2, v[44:45]
	v_mov_b32_e32 v25, s47
	v_add_co_u32_e32 v36, vcc, s46, v36
	v_addc_co_u32_e32 v37, vcc, v25, v37, vcc
	global_load_dword v36, v[36:37], off
	v_mad_i64_i32 v[40:41], s[12:13], v23, s42, 0
	v_lshlrev_b64 v[40:41], 2, v[40:41]
	v_mov_b32_e32 v23, s43
	v_add_co_u32_e32 v40, vcc, s30, v40
	v_addc_co_u32_e32 v41, vcc, v23, v41, vcc
.LBB7_112:                              ;   in Loop: Header=BB7_17 Depth=1
	s_or_b64 exec, exec, s[4:5]
	v_or_b32_e32 v23, 48, v44
	v_cmp_gt_i32_e32 vcc, s31, v23
	s_and_saveexec_b64 s[4:5], vcc
	s_cbranch_execz .LBB7_114
; %bb.113:                              ;   in Loop: Header=BB7_17 Depth=1
	v_ashrrev_i32_e32 v45, 31, v44
	v_lshlrev_b64 v[26:27], 2, v[44:45]
	v_mov_b32_e32 v22, s49
	v_add_co_u32_e32 v26, vcc, s48, v26
	v_addc_co_u32_e32 v27, vcc, v22, v27, vcc
	global_load_dword v22, v[26:27], off
	v_mad_i64_i32 v[26:27], s[12:13], v23, s42, 0
	v_lshlrev_b64 v[26:27], 2, v[26:27]
	v_mov_b32_e32 v23, s43
	v_add_co_u32_e32 v26, vcc, s30, v26
	v_addc_co_u32_e32 v27, vcc, v23, v27, vcc
.LBB7_114:                              ;   in Loop: Header=BB7_17 Depth=1
	s_or_b64 exec, exec, s[4:5]
	v_cmp_ne_u64_e32 vcc, 0, v[42:43]
	s_and_saveexec_b64 s[4:5], s[18:19]
	s_xor_b64 s[24:25], exec, s[4:5]
	s_cbranch_execz .LBB7_134
; %bb.115:                              ;   in Loop: Header=BB7_17 Depth=1
	v_cmp_ne_u64_e64 s[16:17], 0, v[28:29]
	v_cmp_ne_u64_e64 s[12:13], 0, v[40:41]
	;; [unrolled: 1-line block ×3, first 2 shown]
	s_and_saveexec_b64 s[26:27], s[0:1]
	s_cbranch_execz .LBB7_121
; %bb.116:                              ;   in Loop: Header=BB7_17 Depth=1
	s_and_saveexec_b64 s[36:37], vcc
	s_cbranch_execnz .LBB7_143
; %bb.117:                              ;   in Loop: Header=BB7_17 Depth=1
	s_or_b64 exec, exec, s[36:37]
	s_and_saveexec_b64 s[36:37], s[16:17]
	s_cbranch_execnz .LBB7_144
.LBB7_118:                              ;   in Loop: Header=BB7_17 Depth=1
	s_or_b64 exec, exec, s[36:37]
	s_and_saveexec_b64 s[36:37], s[12:13]
	s_cbranch_execnz .LBB7_145
.LBB7_119:                              ;   in Loop: Header=BB7_17 Depth=1
	s_or_b64 exec, exec, s[36:37]
	s_and_b64 exec, exec, s[4:5]
	s_cbranch_execz .LBB7_121
.LBB7_120:                              ;   in Loop: Header=BB7_17 Depth=1
	v_lshlrev_b64 v[44:45], 2, v[30:31]
	v_add_co_u32_e64 v44, s[20:21], v26, v44
	v_addc_co_u32_e64 v45, s[20:21], v27, v45, s[20:21]
	s_waitcnt vmcnt(0)
	v_mul_f32_e32 v6, v22, v6
	flat_store_dword v[44:45], v6
.LBB7_121:                              ;   in Loop: Header=BB7_17 Depth=1
	s_or_b64 exec, exec, s[26:27]
	s_and_saveexec_b64 s[26:27], s[2:3]
	s_cbranch_execz .LBB7_127
; %bb.122:                              ;   in Loop: Header=BB7_17 Depth=1
	s_and_saveexec_b64 s[36:37], vcc
	s_cbranch_execnz .LBB7_146
; %bb.123:                              ;   in Loop: Header=BB7_17 Depth=1
	s_or_b64 exec, exec, s[36:37]
	s_and_saveexec_b64 s[36:37], s[16:17]
	s_cbranch_execnz .LBB7_147
.LBB7_124:                              ;   in Loop: Header=BB7_17 Depth=1
	s_or_b64 exec, exec, s[36:37]
	s_and_saveexec_b64 s[36:37], s[12:13]
	s_cbranch_execnz .LBB7_148
.LBB7_125:                              ;   in Loop: Header=BB7_17 Depth=1
	s_or_b64 exec, exec, s[36:37]
	s_and_b64 exec, exec, s[4:5]
	s_cbranch_execz .LBB7_127
.LBB7_126:                              ;   in Loop: Header=BB7_17 Depth=1
	v_lshlrev_b64 v[10:11], 2, v[30:31]
	v_add_co_u32_e64 v10, s[20:21], v26, v10
	v_addc_co_u32_e64 v11, s[20:21], v27, v11, s[20:21]
	s_waitcnt vmcnt(0)
	v_mul_f32_e32 v6, v22, v7
	flat_store_dword v[10:11], v6 offset:4
.LBB7_127:                              ;   in Loop: Header=BB7_17 Depth=1
	s_or_b64 exec, exec, s[26:27]
	s_and_saveexec_b64 s[26:27], s[14:15]
	s_cbranch_execz .LBB7_133
; %bb.128:                              ;   in Loop: Header=BB7_17 Depth=1
	s_and_saveexec_b64 s[36:37], vcc
	s_cbranch_execnz .LBB7_149
; %bb.129:                              ;   in Loop: Header=BB7_17 Depth=1
	s_or_b64 exec, exec, s[36:37]
	s_and_saveexec_b64 s[20:21], s[16:17]
	s_cbranch_execnz .LBB7_150
.LBB7_130:                              ;   in Loop: Header=BB7_17 Depth=1
	s_or_b64 exec, exec, s[20:21]
	s_and_saveexec_b64 s[16:17], s[12:13]
	s_cbranch_execnz .LBB7_151
.LBB7_131:                              ;   in Loop: Header=BB7_17 Depth=1
	s_or_b64 exec, exec, s[16:17]
	s_and_b64 exec, exec, s[4:5]
	s_cbranch_execz .LBB7_133
.LBB7_132:                              ;   in Loop: Header=BB7_17 Depth=1
	v_lshlrev_b64 v[6:7], 2, v[30:31]
	v_add_co_u32_e64 v6, s[4:5], v26, v6
	v_addc_co_u32_e64 v7, s[4:5], v27, v7, s[4:5]
	s_waitcnt vmcnt(0)
	v_mul_f32_e32 v8, v22, v8
	flat_store_dword v[6:7], v8 offset:8
.LBB7_133:                              ;   in Loop: Header=BB7_17 Depth=1
	s_or_b64 exec, exec, s[26:27]
                                        ; implicit-def: $vgpr18_vgpr19_vgpr20_vgpr21
                                        ; implicit-def: $vgpr14_vgpr15_vgpr16_vgpr17
                                        ; implicit-def: $vgpr10_vgpr11_vgpr12_vgpr13
                                        ; implicit-def: $vgpr6_vgpr7_vgpr8_vgpr9
                                        ; implicit-def: $vgpr42_vgpr43
                                        ; implicit-def: $vgpr38
                                        ; implicit-def: $vgpr28_vgpr29
                                        ; implicit-def: $vgpr24
                                        ; implicit-def: $vgpr40_vgpr41
                                        ; implicit-def: $vgpr36
                                        ; implicit-def: $vgpr26_vgpr27
                                        ; implicit-def: $vgpr22
.LBB7_134:                              ;   in Loop: Header=BB7_17 Depth=1
	s_andn2_saveexec_b64 s[4:5], s[24:25]
	s_cbranch_execz .LBB7_16
; %bb.135:                              ;   in Loop: Header=BB7_17 Depth=1
	s_and_saveexec_b64 s[12:13], vcc
	s_cbranch_execnz .LBB7_139
; %bb.136:                              ;   in Loop: Header=BB7_17 Depth=1
	s_or_b64 exec, exec, s[12:13]
	v_cmp_ne_u64_e32 vcc, 0, v[28:29]
	s_and_saveexec_b64 s[12:13], vcc
	s_cbranch_execnz .LBB7_140
.LBB7_137:                              ;   in Loop: Header=BB7_17 Depth=1
	s_or_b64 exec, exec, s[12:13]
	v_cmp_ne_u64_e32 vcc, 0, v[40:41]
	s_and_saveexec_b64 s[12:13], vcc
	s_cbranch_execnz .LBB7_141
.LBB7_138:                              ;   in Loop: Header=BB7_17 Depth=1
	s_or_b64 exec, exec, s[12:13]
	v_cmp_ne_u64_e32 vcc, 0, v[26:27]
	s_and_saveexec_b64 s[12:13], vcc
	s_cbranch_execz .LBB7_15
	s_branch .LBB7_142
.LBB7_139:                              ;   in Loop: Header=BB7_17 Depth=1
	v_lshlrev_b64 v[44:45], 2, v[30:31]
	v_add_co_u32_e32 v42, vcc, v42, v44
	v_addc_co_u32_e32 v43, vcc, v43, v45, vcc
	s_waitcnt vmcnt(0)
	v_pk_mul_f32 v[20:21], v[20:21], v[38:39] op_sel_hi:[1,0]
	v_pk_mul_f32 v[18:19], v[18:19], v[38:39] op_sel_hi:[1,0]
	flat_store_dwordx4 v[42:43], v[18:21]
	s_or_b64 exec, exec, s[12:13]
	v_cmp_ne_u64_e32 vcc, 0, v[28:29]
	s_and_saveexec_b64 s[12:13], vcc
	s_cbranch_execz .LBB7_137
.LBB7_140:                              ;   in Loop: Header=BB7_17 Depth=1
	v_lshlrev_b64 v[18:19], 2, v[30:31]
	v_add_co_u32_e32 v18, vcc, v28, v18
	v_addc_co_u32_e32 v19, vcc, v29, v19, vcc
	s_waitcnt vmcnt(0)
	v_pk_mul_f32 v[16:17], v[16:17], v[24:25] op_sel_hi:[1,0]
	v_pk_mul_f32 v[14:15], v[14:15], v[24:25] op_sel_hi:[1,0]
	flat_store_dwordx4 v[18:19], v[14:17]
	s_or_b64 exec, exec, s[12:13]
	v_cmp_ne_u64_e32 vcc, 0, v[40:41]
	s_and_saveexec_b64 s[12:13], vcc
	s_cbranch_execz .LBB7_138
.LBB7_141:                              ;   in Loop: Header=BB7_17 Depth=1
	v_lshlrev_b64 v[14:15], 2, v[30:31]
	v_add_co_u32_e32 v14, vcc, v40, v14
	v_addc_co_u32_e32 v15, vcc, v41, v15, vcc
	s_waitcnt vmcnt(0)
	v_pk_mul_f32 v[12:13], v[12:13], v[36:37] op_sel_hi:[1,0]
	v_pk_mul_f32 v[10:11], v[10:11], v[36:37] op_sel_hi:[1,0]
	flat_store_dwordx4 v[14:15], v[10:13]
	s_or_b64 exec, exec, s[12:13]
	v_cmp_ne_u64_e32 vcc, 0, v[26:27]
	s_and_saveexec_b64 s[12:13], vcc
	s_cbranch_execz .LBB7_15
.LBB7_142:                              ;   in Loop: Header=BB7_17 Depth=1
	v_lshlrev_b64 v[10:11], 2, v[30:31]
	v_add_co_u32_e32 v10, vcc, v26, v10
	v_addc_co_u32_e32 v11, vcc, v27, v11, vcc
	s_waitcnt vmcnt(0)
	v_pk_mul_f32 v[8:9], v[8:9], v[22:23] op_sel_hi:[1,0]
	v_pk_mul_f32 v[6:7], v[6:7], v[22:23] op_sel_hi:[1,0]
	flat_store_dwordx4 v[10:11], v[6:9]
	s_branch .LBB7_15
.LBB7_143:                              ;   in Loop: Header=BB7_17 Depth=1
	v_lshlrev_b64 v[44:45], 2, v[30:31]
	v_add_co_u32_e64 v44, s[20:21], v42, v44
	v_addc_co_u32_e64 v45, s[20:21], v43, v45, s[20:21]
	s_waitcnt vmcnt(0)
	v_mul_f32_e32 v9, v38, v18
	flat_store_dword v[44:45], v9
	s_or_b64 exec, exec, s[36:37]
	s_and_saveexec_b64 s[36:37], s[16:17]
	s_cbranch_execz .LBB7_118
.LBB7_144:                              ;   in Loop: Header=BB7_17 Depth=1
	v_lshlrev_b64 v[44:45], 2, v[30:31]
	v_add_co_u32_e64 v44, s[20:21], v28, v44
	v_addc_co_u32_e64 v45, s[20:21], v29, v45, s[20:21]
	s_waitcnt vmcnt(0)
	v_mul_f32_e32 v9, v24, v14
	flat_store_dword v[44:45], v9
	s_or_b64 exec, exec, s[36:37]
	s_and_saveexec_b64 s[36:37], s[12:13]
	s_cbranch_execz .LBB7_119
.LBB7_145:                              ;   in Loop: Header=BB7_17 Depth=1
	v_lshlrev_b64 v[44:45], 2, v[30:31]
	v_add_co_u32_e64 v44, s[20:21], v40, v44
	v_addc_co_u32_e64 v45, s[20:21], v41, v45, s[20:21]
	s_waitcnt vmcnt(0)
	v_mul_f32_e32 v9, v36, v10
	flat_store_dword v[44:45], v9
	s_or_b64 exec, exec, s[36:37]
	s_and_b64 exec, exec, s[4:5]
	s_cbranch_execnz .LBB7_120
	s_branch .LBB7_121
.LBB7_146:                              ;   in Loop: Header=BB7_17 Depth=1
	v_lshlrev_b64 v[44:45], 2, v[30:31]
	v_add_co_u32_e64 v44, s[20:21], v42, v44
	v_addc_co_u32_e64 v45, s[20:21], v43, v45, s[20:21]
	s_waitcnt vmcnt(0)
	v_mul_f32_e32 v6, v38, v19
	flat_store_dword v[44:45], v6 offset:4
	s_or_b64 exec, exec, s[36:37]
	s_and_saveexec_b64 s[36:37], s[16:17]
	s_cbranch_execz .LBB7_124
.LBB7_147:                              ;   in Loop: Header=BB7_17 Depth=1
	v_lshlrev_b64 v[18:19], 2, v[30:31]
	v_add_co_u32_e64 v18, s[20:21], v28, v18
	v_addc_co_u32_e64 v19, s[20:21], v29, v19, s[20:21]
	s_waitcnt vmcnt(0)
	v_mul_f32_e32 v6, v24, v15
	flat_store_dword v[18:19], v6 offset:4
	s_or_b64 exec, exec, s[36:37]
	s_and_saveexec_b64 s[36:37], s[12:13]
	s_cbranch_execz .LBB7_125
.LBB7_148:                              ;   in Loop: Header=BB7_17 Depth=1
	v_lshlrev_b64 v[14:15], 2, v[30:31]
	v_add_co_u32_e64 v14, s[20:21], v40, v14
	v_addc_co_u32_e64 v15, s[20:21], v41, v15, s[20:21]
	s_waitcnt vmcnt(0)
	v_mul_f32_e32 v6, v36, v11
	flat_store_dword v[14:15], v6 offset:4
	s_or_b64 exec, exec, s[36:37]
	s_and_b64 exec, exec, s[4:5]
	s_cbranch_execnz .LBB7_126
	s_branch .LBB7_127
.LBB7_149:                              ;   in Loop: Header=BB7_17 Depth=1
	v_lshlrev_b64 v[6:7], 2, v[30:31]
	v_add_co_u32_e64 v6, s[20:21], v42, v6
	v_addc_co_u32_e64 v7, s[20:21], v43, v7, s[20:21]
	s_waitcnt vmcnt(0)
	v_mul_f32_e32 v9, v38, v20
	flat_store_dword v[6:7], v9 offset:8
	s_or_b64 exec, exec, s[36:37]
	s_and_saveexec_b64 s[20:21], s[16:17]
	s_cbranch_execz .LBB7_130
.LBB7_150:                              ;   in Loop: Header=BB7_17 Depth=1
	v_lshlrev_b64 v[6:7], 2, v[30:31]
	v_add_co_u32_e64 v6, s[16:17], v28, v6
	v_addc_co_u32_e64 v7, s[16:17], v29, v7, s[16:17]
	s_waitcnt vmcnt(0)
	v_mul_f32_e32 v9, v24, v16
	flat_store_dword v[6:7], v9 offset:8
	s_or_b64 exec, exec, s[20:21]
	s_and_saveexec_b64 s[16:17], s[12:13]
	s_cbranch_execz .LBB7_131
.LBB7_151:                              ;   in Loop: Header=BB7_17 Depth=1
	v_lshlrev_b64 v[6:7], 2, v[30:31]
	v_add_co_u32_e64 v6, s[12:13], v40, v6
	v_addc_co_u32_e64 v7, s[12:13], v41, v7, s[12:13]
	s_waitcnt vmcnt(0)
	v_mul_f32_e32 v9, v36, v12
	flat_store_dword v[6:7], v9 offset:8
	s_or_b64 exec, exec, s[16:17]
	s_and_b64 exec, exec, s[4:5]
	s_cbranch_execnz .LBB7_132
	s_branch .LBB7_133
.LBB7_152:
	s_endpgm
	.section	.rodata,"a",@progbits
	.p2align	6, 0x0
	.amdhsa_kernel _Z26moe_mlp2_store_mfma_kernelPKiiiPKfS2_PfPK14__hip_bfloat16S6_iixx
		.amdhsa_group_segment_fixed_size 17408
		.amdhsa_private_segment_fixed_size 0
		.amdhsa_kernarg_size 336
		.amdhsa_user_sgpr_count 6
		.amdhsa_user_sgpr_private_segment_buffer 1
		.amdhsa_user_sgpr_dispatch_ptr 0
		.amdhsa_user_sgpr_queue_ptr 0
		.amdhsa_user_sgpr_kernarg_segment_ptr 1
		.amdhsa_user_sgpr_dispatch_id 0
		.amdhsa_user_sgpr_flat_scratch_init 0
		.amdhsa_user_sgpr_kernarg_preload_length 0
		.amdhsa_user_sgpr_kernarg_preload_offset 0
		.amdhsa_user_sgpr_private_segment_size 0
		.amdhsa_uses_dynamic_stack 0
		.amdhsa_system_sgpr_private_segment_wavefront_offset 0
		.amdhsa_system_sgpr_workgroup_id_x 1
		.amdhsa_system_sgpr_workgroup_id_y 1
		.amdhsa_system_sgpr_workgroup_id_z 1
		.amdhsa_system_sgpr_workgroup_info 0
		.amdhsa_system_vgpr_workitem_id 0
		.amdhsa_next_free_vgpr 62
		.amdhsa_next_free_sgpr 57
		.amdhsa_accum_offset 64
		.amdhsa_reserve_vcc 1
		.amdhsa_reserve_flat_scratch 0
		.amdhsa_float_round_mode_32 0
		.amdhsa_float_round_mode_16_64 0
		.amdhsa_float_denorm_mode_32 3
		.amdhsa_float_denorm_mode_16_64 3
		.amdhsa_dx10_clamp 1
		.amdhsa_ieee_mode 1
		.amdhsa_fp16_overflow 0
		.amdhsa_tg_split 0
		.amdhsa_exception_fp_ieee_invalid_op 0
		.amdhsa_exception_fp_denorm_src 0
		.amdhsa_exception_fp_ieee_div_zero 0
		.amdhsa_exception_fp_ieee_overflow 0
		.amdhsa_exception_fp_ieee_underflow 0
		.amdhsa_exception_fp_ieee_inexact 0
		.amdhsa_exception_int_div_zero 0
	.end_amdhsa_kernel
	.text
.Lfunc_end7:
	.size	_Z26moe_mlp2_store_mfma_kernelPKiiiPKfS2_PfPK14__hip_bfloat16S6_iixx, .Lfunc_end7-_Z26moe_mlp2_store_mfma_kernelPKiiiPKfS2_PfPK14__hip_bfloat16S6_iixx
                                        ; -- End function
	.section	.AMDGPU.csdata,"",@progbits
; Kernel info:
; codeLenInByte = 4688
; NumSgprs: 61
; NumVgprs: 62
; NumAgprs: 0
; TotalNumVgprs: 62
; ScratchSize: 0
; MemoryBound: 0
; FloatMode: 240
; IeeeMode: 1
; LDSByteSize: 17408 bytes/workgroup (compile time only)
; SGPRBlocks: 7
; VGPRBlocks: 7
; NumSGPRsForWavesPerEU: 61
; NumVGPRsForWavesPerEU: 62
; AccumOffset: 64
; Occupancy: 8
; WaveLimiterHint : 1
; COMPUTE_PGM_RSRC2:SCRATCH_EN: 0
; COMPUTE_PGM_RSRC2:USER_SGPR: 6
; COMPUTE_PGM_RSRC2:TRAP_HANDLER: 0
; COMPUTE_PGM_RSRC2:TGID_X_EN: 1
; COMPUTE_PGM_RSRC2:TGID_Y_EN: 1
; COMPUTE_PGM_RSRC2:TGID_Z_EN: 1
; COMPUTE_PGM_RSRC2:TIDIG_COMP_CNT: 0
; COMPUTE_PGM_RSRC3_GFX90A:ACCUM_OFFSET: 15
; COMPUTE_PGM_RSRC3_GFX90A:TG_SPLIT: 0
	.text
	.protected	_Z36accumulate_remote_assignments_kernelPKfPKiiiiPf ; -- Begin function _Z36accumulate_remote_assignments_kernelPKfPKiiiiPf
	.globl	_Z36accumulate_remote_assignments_kernelPKfPKiiiiPf
	.p2align	8
	.type	_Z36accumulate_remote_assignments_kernelPKfPKiiiiPf,@function
_Z36accumulate_remote_assignments_kernelPKfPKiiiiPf: ; @_Z36accumulate_remote_assignments_kernelPKfPKiiiiPf
; %bb.0:
	s_load_dword s8, s[4:5], 0x34
	s_load_dwordx4 s[0:3], s[4:5], 0x10
	s_waitcnt lgkmcnt(0)
	s_and_b32 s3, s8, 0xffff
	s_mul_i32 s6, s6, s3
	v_add_u32_e32 v0, s6, v0
	s_cmp_lt_i32 s7, s1
	v_cmp_gt_i32_e32 vcc, s2, v0
	s_cselect_b64 s[8:9], -1, 0
	s_and_b64 s[8:9], s[8:9], vcc
	s_and_saveexec_b64 s[10:11], s[8:9]
	s_cbranch_execz .LBB8_3
; %bb.1:
	s_load_dwordx4 s[8:11], s[4:5], 0x0
	s_load_dwordx2 s[12:13], s[4:5], 0x20
	s_add_i32 s0, s7, s0
	s_ashr_i32 s1, s0, 31
	s_lshl_b64 s[0:1], s[0:1], 2
	s_waitcnt lgkmcnt(0)
	s_add_u32 s0, s10, s0
	s_addc_u32 s1, s11, s1
	s_load_dword s0, s[0:1], 0x0
	v_ashrrev_i32_e32 v1, 31, v0
	v_lshlrev_b64 v[2:3], 2, v[0:1]
	s_waitcnt lgkmcnt(0)
	s_mul_hi_i32 s1, s0, s2
	s_mul_i32 s0, s0, s2
	s_lshl_b64 s[0:1], s[0:1], 2
	s_add_u32 s0, s12, s0
	s_addc_u32 s1, s13, s1
	v_mov_b32_e32 v1, s1
	v_add_co_u32_e32 v0, vcc, s0, v2
	s_mul_hi_i32 s1, s2, s7
	s_mul_i32 s0, s2, s7
	s_lshl_b64 s[0:1], s[0:1], 2
	s_add_u32 s0, s8, s0
	v_addc_co_u32_e32 v1, vcc, v1, v3, vcc
	s_addc_u32 s1, s9, s1
	v_mov_b32_e32 v4, s1
	v_add_co_u32_e32 v6, vcc, s0, v2
	v_addc_co_u32_e32 v7, vcc, v4, v3, vcc
	global_load_dword v4, v[6:7], off
	global_load_dword v3, v[0:1], off
	s_mov_b64 s[0:1], 0
.LBB8_2:                                ; =>This Inner Loop Header: Depth=1
	s_waitcnt vmcnt(0)
	v_add_f32_e32 v2, v3, v4
	global_atomic_cmpswap v2, v[0:1], v[2:3], off glc
	s_waitcnt vmcnt(0)
	v_cmp_eq_u32_e32 vcc, v2, v3
	s_or_b64 s[0:1], vcc, s[0:1]
	v_mov_b32_e32 v3, v2
	s_andn2_b64 exec, exec, s[0:1]
	s_cbranch_execnz .LBB8_2
.LBB8_3:
	s_endpgm
	.section	.rodata,"a",@progbits
	.p2align	6, 0x0
	.amdhsa_kernel _Z36accumulate_remote_assignments_kernelPKfPKiiiiPf
		.amdhsa_group_segment_fixed_size 0
		.amdhsa_private_segment_fixed_size 0
		.amdhsa_kernarg_size 296
		.amdhsa_user_sgpr_count 6
		.amdhsa_user_sgpr_private_segment_buffer 1
		.amdhsa_user_sgpr_dispatch_ptr 0
		.amdhsa_user_sgpr_queue_ptr 0
		.amdhsa_user_sgpr_kernarg_segment_ptr 1
		.amdhsa_user_sgpr_dispatch_id 0
		.amdhsa_user_sgpr_flat_scratch_init 0
		.amdhsa_user_sgpr_kernarg_preload_length 0
		.amdhsa_user_sgpr_kernarg_preload_offset 0
		.amdhsa_user_sgpr_private_segment_size 0
		.amdhsa_uses_dynamic_stack 0
		.amdhsa_system_sgpr_private_segment_wavefront_offset 0
		.amdhsa_system_sgpr_workgroup_id_x 1
		.amdhsa_system_sgpr_workgroup_id_y 1
		.amdhsa_system_sgpr_workgroup_id_z 0
		.amdhsa_system_sgpr_workgroup_info 0
		.amdhsa_system_vgpr_workitem_id 0
		.amdhsa_next_free_vgpr 8
		.amdhsa_next_free_sgpr 14
		.amdhsa_accum_offset 8
		.amdhsa_reserve_vcc 1
		.amdhsa_reserve_flat_scratch 0
		.amdhsa_float_round_mode_32 0
		.amdhsa_float_round_mode_16_64 0
		.amdhsa_float_denorm_mode_32 3
		.amdhsa_float_denorm_mode_16_64 3
		.amdhsa_dx10_clamp 1
		.amdhsa_ieee_mode 1
		.amdhsa_fp16_overflow 0
		.amdhsa_tg_split 0
		.amdhsa_exception_fp_ieee_invalid_op 0
		.amdhsa_exception_fp_denorm_src 0
		.amdhsa_exception_fp_ieee_div_zero 0
		.amdhsa_exception_fp_ieee_overflow 0
		.amdhsa_exception_fp_ieee_underflow 0
		.amdhsa_exception_fp_ieee_inexact 0
		.amdhsa_exception_int_div_zero 0
	.end_amdhsa_kernel
	.text
.Lfunc_end8:
	.size	_Z36accumulate_remote_assignments_kernelPKfPKiiiiPf, .Lfunc_end8-_Z36accumulate_remote_assignments_kernelPKfPKiiiiPf
                                        ; -- End function
	.section	.AMDGPU.csdata,"",@progbits
; Kernel info:
; codeLenInByte = 252
; NumSgprs: 18
; NumVgprs: 8
; NumAgprs: 0
; TotalNumVgprs: 8
; ScratchSize: 0
; MemoryBound: 0
; FloatMode: 240
; IeeeMode: 1
; LDSByteSize: 0 bytes/workgroup (compile time only)
; SGPRBlocks: 2
; VGPRBlocks: 0
; NumSGPRsForWavesPerEU: 18
; NumVGPRsForWavesPerEU: 8
; AccumOffset: 8
; Occupancy: 8
; WaveLimiterHint : 1
; COMPUTE_PGM_RSRC2:SCRATCH_EN: 0
; COMPUTE_PGM_RSRC2:USER_SGPR: 6
; COMPUTE_PGM_RSRC2:TRAP_HANDLER: 0
; COMPUTE_PGM_RSRC2:TGID_X_EN: 1
; COMPUTE_PGM_RSRC2:TGID_Y_EN: 1
; COMPUTE_PGM_RSRC2:TGID_Z_EN: 0
; COMPUTE_PGM_RSRC2:TIDIG_COMP_CNT: 0
; COMPUTE_PGM_RSRC3_GFX90A:ACCUM_OFFSET: 1
; COMPUTE_PGM_RSRC3_GFX90A:TG_SPLIT: 0
	.text
	.protected	_Z14rmsnorm_kernelPfS_P14__hip_bfloat16ii ; -- Begin function _Z14rmsnorm_kernelPfS_P14__hip_bfloat16ii
	.globl	_Z14rmsnorm_kernelPfS_P14__hip_bfloat16ii
	.p2align	8
	.type	_Z14rmsnorm_kernelPfS_P14__hip_bfloat16ii,@function
_Z14rmsnorm_kernelPfS_P14__hip_bfloat16ii: ; @_Z14rmsnorm_kernelPfS_P14__hip_bfloat16ii
; %bb.0:
	s_load_dwordx2 s[12:13], s[4:5], 0x18
	s_waitcnt lgkmcnt(0)
	s_cmp_ge_i32 s6, s12
	s_cbranch_scc1 .LBB9_14
; %bb.1:
	s_load_dwordx4 s[8:11], s[4:5], 0x0
	s_load_dwordx2 s[14:15], s[4:5], 0x10
	s_mul_i32 s0, s6, s13
	s_ashr_i32 s1, s0, 31
	s_lshl_b64 s[6:7], s[0:1], 2
	s_waitcnt lgkmcnt(0)
	s_add_u32 s12, s10, s6
	s_addc_u32 s16, s11, s7
	v_cmp_gt_i32_e64 s[0:1], s13, v0
	v_mov_b32_e32 v4, 0
	s_and_saveexec_b64 s[2:3], s[0:1]
	s_cbranch_execz .LBB9_5
; %bb.2:
	s_load_dword s17, s[4:5], 0x2c
	s_mov_b64 s[10:11], 0
	v_mov_b32_e32 v4, 0
	v_mov_b32_e32 v1, s16
	;; [unrolled: 1-line block ×3, first 2 shown]
	s_waitcnt lgkmcnt(0)
	s_and_b32 s17, s17, 0xffff
.LBB9_3:                                ; =>This Inner Loop Header: Depth=1
	v_ashrrev_i32_e32 v3, 31, v2
	v_lshlrev_b64 v[6:7], 2, v[2:3]
	v_add_co_u32_e32 v6, vcc, s12, v6
	v_addc_co_u32_e32 v7, vcc, v1, v7, vcc
	global_load_dword v3, v[6:7], off
	v_add_u32_e32 v2, s17, v2
	v_cmp_le_i32_e32 vcc, s13, v2
	s_or_b64 s[10:11], vcc, s[10:11]
	s_waitcnt vmcnt(0)
	v_fmac_f32_e32 v4, v3, v3
	s_andn2_b64 exec, exec, s[10:11]
	s_cbranch_execnz .LBB9_3
; %bb.4:
	s_or_b64 exec, exec, s[10:11]
.LBB9_5:
	s_or_b64 exec, exec, s[2:3]
	v_mbcnt_lo_u32_b32 v1, -1, 0
	v_mbcnt_hi_u32_b32 v7, -1, v1
	v_and_b32_e32 v1, 64, v7
	v_add_u32_e32 v8, 64, v1
	v_xor_b32_e32 v1, 32, v7
	v_cmp_lt_i32_e32 vcc, v1, v8
	v_cndmask_b32_e32 v1, v7, v1, vcc
	v_lshlrev_b32_e32 v1, 2, v1
	ds_bpermute_b32 v2, v1, v4
	v_xor_b32_e32 v3, 16, v7
	v_cmp_lt_i32_e32 vcc, v3, v8
	v_xor_b32_e32 v5, 8, v7
	v_xor_b32_e32 v6, 4, v7
	s_waitcnt lgkmcnt(0)
	v_add_f32_e32 v4, v4, v2
	v_cndmask_b32_e32 v2, v7, v3, vcc
	v_lshlrev_b32_e32 v2, 2, v2
	ds_bpermute_b32 v3, v2, v4
	v_cmp_lt_i32_e32 vcc, v5, v8
	v_xor_b32_e32 v9, 2, v7
	v_xor_b32_e32 v10, 1, v7
	s_waitcnt lgkmcnt(0)
	v_add_f32_e32 v4, v4, v3
	v_cndmask_b32_e32 v3, v7, v5, vcc
	v_lshlrev_b32_e32 v3, 2, v3
	ds_bpermute_b32 v5, v3, v4
	v_cmp_lt_i32_e32 vcc, v6, v8
	s_waitcnt lgkmcnt(0)
	v_add_f32_e32 v5, v4, v5
	v_cndmask_b32_e32 v4, v7, v6, vcc
	v_lshlrev_b32_e32 v4, 2, v4
	ds_bpermute_b32 v6, v4, v5
	v_cmp_lt_i32_e32 vcc, v9, v8
	;; [unrolled: 6-line block ×3, first 2 shown]
	v_cndmask_b32_e32 v7, v7, v10, vcc
	v_lshlrev_b32_e32 v7, 2, v7
	v_and_b32_e32 v8, 63, v0
	s_waitcnt lgkmcnt(0)
	v_add_f32_e32 v5, v5, v9
	ds_bpermute_b32 v9, v7, v5
	v_cmp_eq_u32_e32 vcc, 0, v8
	s_and_saveexec_b64 s[2:3], vcc
	s_cbranch_execz .LBB9_7
; %bb.6:
	s_waitcnt lgkmcnt(0)
	v_add_f32_e32 v5, v5, v9
	v_lshrrev_b32_e32 v9, 4, v0
	ds_write_b32 v9, v5
.LBB9_7:
	s_or_b64 exec, exec, s[2:3]
	s_waitcnt lgkmcnt(0)
	s_barrier
	s_load_dword s10, s[4:5], 0x2c
	v_mov_b32_e32 v5, 0
	s_waitcnt lgkmcnt(0)
	s_bfe_u32 s2, s10, 0xa0006
	v_cmp_gt_u32_e32 vcc, s2, v0
	s_and_saveexec_b64 s[2:3], vcc
	s_cbranch_execnz .LBB9_15
; %bb.8:
	s_or_b64 exec, exec, s[2:3]
	v_cmp_gt_u32_e32 vcc, 64, v0
	s_and_saveexec_b64 s[2:3], vcc
	s_cbranch_execnz .LBB9_16
.LBB9_9:
	s_or_b64 exec, exec, s[2:3]
	v_cmp_eq_u32_e32 vcc, 0, v0
	s_and_saveexec_b64 s[4:5], vcc
	s_cbranch_execz .LBB9_11
.LBB9_10:
	v_cvt_f32_i32_e32 v1, s13
	s_waitcnt lgkmcnt(0)
	v_div_scale_f32 v2, s[2:3], v1, v1, v5
	v_rcp_f32_e32 v3, v2
	v_div_scale_f32 v4, vcc, v5, v1, v5
	s_mov_b32 s2, 0xf800000
	v_fma_f32 v6, -v2, v3, 1.0
	v_fmac_f32_e32 v3, v6, v3
	v_mul_f32_e32 v6, v4, v3
	v_fma_f32 v7, -v2, v6, v4
	v_fmac_f32_e32 v6, v7, v3
	v_fma_f32 v2, -v2, v6, v4
	v_div_fmas_f32 v2, v2, v3, v6
	v_div_fixup_f32 v1, v2, v1, v5
	v_add_f32_e32 v1, 0x3727c5ac, v1
	v_mul_f32_e32 v2, 0x4f800000, v1
	v_cmp_gt_f32_e32 vcc, s2, v1
	v_cndmask_b32_e32 v1, v1, v2, vcc
	v_sqrt_f32_e32 v2, v1
	v_add_u32_e32 v3, -1, v2
	v_add_u32_e32 v4, 1, v2
	v_fma_f32 v5, -v3, v2, v1
	v_fma_f32 v6, -v4, v2, v1
	v_cmp_ge_f32_e64 s[2:3], 0, v5
	v_cndmask_b32_e64 v2, v2, v3, s[2:3]
	v_cmp_lt_f32_e64 s[2:3], 0, v6
	v_cndmask_b32_e64 v2, v2, v4, s[2:3]
	v_mul_f32_e32 v3, 0x37800000, v2
	v_cndmask_b32_e32 v2, v2, v3, vcc
	v_mov_b32_e32 v3, 0x260
	v_cmp_class_f32_e32 vcc, v1, v3
	v_cndmask_b32_e32 v1, v2, v1, vcc
	v_div_scale_f32 v2, s[2:3], v1, v1, 1.0
	v_rcp_f32_e32 v3, v2
	v_fma_f32 v4, -v2, v3, 1.0
	v_fmac_f32_e32 v3, v4, v3
	v_div_scale_f32 v4, vcc, 1.0, v1, 1.0
	v_mul_f32_e32 v5, v4, v3
	v_fma_f32 v6, -v2, v5, v4
	v_fmac_f32_e32 v5, v6, v3
	v_fma_f32 v2, -v2, v5, v4
	v_div_fmas_f32 v2, v2, v3, v5
	v_div_fixup_f32 v1, v2, v1, 1.0
	v_mov_b32_e32 v2, 0
	ds_write_b32 v2, v1 offset:64
.LBB9_11:
	s_or_b64 exec, exec, s[4:5]
	s_waitcnt lgkmcnt(0)
	s_barrier
	s_and_saveexec_b64 s[2:3], s[0:1]
	s_cbranch_execz .LBB9_14
; %bb.12:
	v_mov_b32_e32 v1, 0
	ds_read_b32 v2, v1 offset:64
	s_and_b32 s2, s10, 0xffff
	s_add_u32 s3, s8, s6
	s_addc_u32 s4, s9, s7
	s_mov_b64 s[0:1], 0
	v_mov_b32_e32 v3, s15
	v_mov_b32_e32 v4, s16
	;; [unrolled: 1-line block ×3, first 2 shown]
.LBB9_13:                               ; =>This Inner Loop Header: Depth=1
	v_ashrrev_i32_e32 v1, 31, v0
	v_lshlrev_b64 v[6:7], 1, v[0:1]
	v_add_co_u32_e32 v6, vcc, s14, v6
	v_addc_co_u32_e32 v7, vcc, v3, v7, vcc
	global_load_ushort v10, v[6:7], off
	v_lshlrev_b64 v[6:7], 2, v[0:1]
	v_add_co_u32_e32 v8, vcc, s12, v6
	v_addc_co_u32_e32 v9, vcc, v4, v7, vcc
	global_load_dword v1, v[8:9], off
	v_add_co_u32_e32 v6, vcc, s3, v6
	v_add_u32_e32 v0, s2, v0
	v_addc_co_u32_e32 v7, vcc, v5, v7, vcc
	v_cmp_le_i32_e32 vcc, s13, v0
	s_or_b64 s[0:1], vcc, s[0:1]
	s_waitcnt vmcnt(1)
	v_lshlrev_b32_e32 v8, 16, v10
	s_waitcnt lgkmcnt(0)
	v_mul_f32_e32 v8, v2, v8
	s_waitcnt vmcnt(0)
	v_mul_f32_e32 v1, v1, v8
	global_store_dword v[6:7], v1, off
	s_andn2_b64 exec, exec, s[0:1]
	s_cbranch_execnz .LBB9_13
.LBB9_14:
	s_endpgm
.LBB9_15:
	v_lshlrev_b32_e32 v5, 2, v8
	ds_read_b32 v5, v5
	s_or_b64 exec, exec, s[2:3]
	v_cmp_gt_u32_e32 vcc, 64, v0
	s_and_saveexec_b64 s[2:3], vcc
	s_cbranch_execz .LBB9_9
.LBB9_16:
	s_waitcnt lgkmcnt(0)
	ds_bpermute_b32 v1, v1, v5
	s_waitcnt lgkmcnt(0)
	v_add_f32_e32 v1, v5, v1
	ds_bpermute_b32 v2, v2, v1
	s_waitcnt lgkmcnt(0)
	v_add_f32_e32 v1, v1, v2
	;; [unrolled: 3-line block ×6, first 2 shown]
	s_or_b64 exec, exec, s[2:3]
	v_cmp_eq_u32_e32 vcc, 0, v0
	s_and_saveexec_b64 s[4:5], vcc
	s_cbranch_execnz .LBB9_10
	s_branch .LBB9_11
	.section	.rodata,"a",@progbits
	.p2align	6, 0x0
	.amdhsa_kernel _Z14rmsnorm_kernelPfS_P14__hip_bfloat16ii
		.amdhsa_group_segment_fixed_size 68
		.amdhsa_private_segment_fixed_size 0
		.amdhsa_kernarg_size 288
		.amdhsa_user_sgpr_count 6
		.amdhsa_user_sgpr_private_segment_buffer 1
		.amdhsa_user_sgpr_dispatch_ptr 0
		.amdhsa_user_sgpr_queue_ptr 0
		.amdhsa_user_sgpr_kernarg_segment_ptr 1
		.amdhsa_user_sgpr_dispatch_id 0
		.amdhsa_user_sgpr_flat_scratch_init 0
		.amdhsa_user_sgpr_kernarg_preload_length 0
		.amdhsa_user_sgpr_kernarg_preload_offset 0
		.amdhsa_user_sgpr_private_segment_size 0
		.amdhsa_uses_dynamic_stack 0
		.amdhsa_system_sgpr_private_segment_wavefront_offset 0
		.amdhsa_system_sgpr_workgroup_id_x 1
		.amdhsa_system_sgpr_workgroup_id_y 0
		.amdhsa_system_sgpr_workgroup_id_z 0
		.amdhsa_system_sgpr_workgroup_info 0
		.amdhsa_system_vgpr_workitem_id 0
		.amdhsa_next_free_vgpr 11
		.amdhsa_next_free_sgpr 18
		.amdhsa_accum_offset 12
		.amdhsa_reserve_vcc 1
		.amdhsa_reserve_flat_scratch 0
		.amdhsa_float_round_mode_32 0
		.amdhsa_float_round_mode_16_64 0
		.amdhsa_float_denorm_mode_32 3
		.amdhsa_float_denorm_mode_16_64 3
		.amdhsa_dx10_clamp 1
		.amdhsa_ieee_mode 1
		.amdhsa_fp16_overflow 0
		.amdhsa_tg_split 0
		.amdhsa_exception_fp_ieee_invalid_op 0
		.amdhsa_exception_fp_denorm_src 0
		.amdhsa_exception_fp_ieee_div_zero 0
		.amdhsa_exception_fp_ieee_overflow 0
		.amdhsa_exception_fp_ieee_underflow 0
		.amdhsa_exception_fp_ieee_inexact 0
		.amdhsa_exception_int_div_zero 0
	.end_amdhsa_kernel
	.text
.Lfunc_end9:
	.size	_Z14rmsnorm_kernelPfS_P14__hip_bfloat16ii, .Lfunc_end9-_Z14rmsnorm_kernelPfS_P14__hip_bfloat16ii
                                        ; -- End function
	.section	.AMDGPU.csdata,"",@progbits
; Kernel info:
; codeLenInByte = 1116
; NumSgprs: 22
; NumVgprs: 11
; NumAgprs: 0
; TotalNumVgprs: 11
; ScratchSize: 0
; MemoryBound: 0
; FloatMode: 240
; IeeeMode: 1
; LDSByteSize: 68 bytes/workgroup (compile time only)
; SGPRBlocks: 2
; VGPRBlocks: 1
; NumSGPRsForWavesPerEU: 22
; NumVGPRsForWavesPerEU: 11
; AccumOffset: 12
; Occupancy: 8
; WaveLimiterHint : 0
; COMPUTE_PGM_RSRC2:SCRATCH_EN: 0
; COMPUTE_PGM_RSRC2:USER_SGPR: 6
; COMPUTE_PGM_RSRC2:TRAP_HANDLER: 0
; COMPUTE_PGM_RSRC2:TGID_X_EN: 1
; COMPUTE_PGM_RSRC2:TGID_Y_EN: 0
; COMPUTE_PGM_RSRC2:TGID_Z_EN: 0
; COMPUTE_PGM_RSRC2:TIDIG_COMP_CNT: 0
; COMPUTE_PGM_RSRC3_GFX90A:ACCUM_OFFSET: 2
; COMPUTE_PGM_RSRC3_GFX90A:TG_SPLIT: 0
	.text
	.protected	_Z14rope_qk_kernelPfPviiiiiiiPKiiS2_xfffffPKxS2_S2_ ; -- Begin function _Z14rope_qk_kernelPfPviiiiiiiPKiiS2_xfffffPKxS2_S2_
	.globl	_Z14rope_qk_kernelPfPviiiiiiiPKiiS2_xfffffPKxS2_S2_
	.p2align	8
	.type	_Z14rope_qk_kernelPfPviiiiiiiPKiiS2_xfffffPKxS2_S2_,@function
_Z14rope_qk_kernelPfPviiiiiiiPKiiS2_xfffffPKxS2_S2_: ; @_Z14rope_qk_kernelPfPviiiiiiiPKiiS2_xfffffPKxS2_S2_
; %bb.0:
	s_load_dwordx4 s[36:39], s[4:5], 0x10
	s_load_dword s0, s[4:5], 0x8c
	s_waitcnt lgkmcnt(0)
	s_ashr_i32 s30, s39, 1
	s_and_b32 s0, s0, 0xffff
	s_mul_i32 s6, s6, s0
	v_add_u32_e32 v0, s6, v0
	s_cmp_lt_i32 s7, s36
	s_cselect_b64 s[0:1], -1, 0
	v_cmp_gt_i32_e32 vcc, s30, v0
	s_and_b64 s[0:1], s[0:1], vcc
	s_and_saveexec_b64 s[2:3], s[0:1]
	s_cbranch_execz .LBB10_28
; %bb.1:
	v_cvt_f32_i32_e32 v6, s39
	s_load_dwordx2 s[0:1], s[4:5], 0x40
	s_load_dwordx2 s[2:3], s[4:5], 0x30
	s_load_dwordx4 s[40:43], s[4:5], 0x50
	s_mov_b32 s44, s7
	s_ashr_i32 s45, s7, 31
	v_div_scale_f32 v1, s[8:9], v6, v6, -2.0
	v_rcp_f32_e32 v3, v1
	s_waitcnt lgkmcnt(0)
	v_cmp_eq_f32_e64 s[46:47], s40, 1.0
	s_lshl_b64 s[6:7], s[44:45], 2
	s_add_u32 s2, s2, s6
	v_fma_f32 v2, -v1, v3, 1.0
	v_fmac_f32_e32 v3, v2, v3
	v_div_scale_f32 v2, vcc, -2.0, v6, -2.0
	v_mul_f32_e32 v4, v2, v3
	v_fma_f32 v5, -v1, v4, v2
	v_fmac_f32_e32 v4, v5, v3
	v_fma_f32 v1, -v1, v4, v2
	v_cvt_f32_i32_e32 v2, v0
	v_div_fmas_f32 v1, v1, v3, v4
	v_div_fixup_f32 v1, v1, v6, -2.0
	v_mov_b32_e32 v26, s40
	v_mul_f32_e32 v24, v1, v2
	v_cndmask_b32_e64 v25, v24, 1.0, s[46:47]
	v_cmp_eq_f32_e32 vcc, 0, v25
	s_addc_u32 s3, s3, s7
	v_cndmask_b32_e64 v3, |v26|, 1.0, vcc
	s_add_u32 s34, s0, s6
	v_frexp_mant_f32_e32 v4, v3
	s_mov_b32 s51, 0x3f2aaaab
	s_addc_u32 s35, s1, s7
	v_cmp_gt_f32_e64 s[0:1], s51, v4
	v_cndmask_b32_e64 v5, 1.0, 2.0, s[0:1]
	v_mul_f32_e32 v4, v4, v5
	v_add_f32_e32 v7, 1.0, v4
	v_rcp_f32_e32 v14, v7
	v_add_f32_e32 v5, -1.0, v7
	v_sub_f32_e32 v9, v4, v5
	v_add_f32_e32 v5, -1.0, v4
	v_mul_f32_e32 v15, v5, v14
	v_mul_f32_e32 v8, v7, v15
	v_fma_f32 v10, v15, v7, -v8
	v_fmac_f32_e32 v10, v15, v9
	v_add_f32_e32 v4, v8, v10
	v_sub_f32_e32 v9, v5, v4
	v_pk_add_f32 v[12:13], v[4:5], v[8:9] neg_lo:[0,1] neg_hi:[0,1]
	v_mov_b32_e32 v11, v4
	v_pk_add_f32 v[4:5], v[12:13], v[10:11] neg_lo:[0,1] neg_hi:[0,1]
	v_add_f32_e32 v4, v4, v5
	v_add_f32_e32 v4, v9, v4
	v_mul_f32_e32 v5, v14, v4
	v_add_f32_e32 v4, v15, v5
	v_sub_f32_e32 v7, v4, v15
	v_sub_f32_e32 v9, v5, v7
	v_mul_f32_e32 v5, v4, v4
	v_fma_f32 v11, v4, v4, -v5
	v_add_f32_e32 v7, v9, v9
	v_fmac_f32_e32 v11, v4, v7
	v_add_f32_e32 v10, v5, v11
	v_mov_b32_e32 v12, 0x3e91f4c4
	v_fmac_f32_e32 v12, 0x3e76c4e1, v10
	v_mov_b32_e32 v7, 0x3ecccdef
	v_fma_f32 v12, v10, v12, v7
	v_sub_f32_e32 v5, v10, v5
	v_sub_f32_e32 v18, v11, v5
	v_mul_f32_e32 v5, v10, v12
	v_fma_f32 v11, v10, v12, -v5
	v_fmac_f32_e32 v11, v18, v12
	v_add_f32_e32 v12, v5, v11
	v_add_f32_e32 v13, 0x3f2aaaaa, v12
	v_sub_f32_e32 v5, v12, v5
	v_sub_f32_e32 v5, v11, v5
	v_add_f32_e32 v11, 0xbf2aaaaa, v13
	v_add_f32_e32 v5, 0x31739010, v5
	v_sub_f32_e32 v11, v12, v11
	v_pk_mul_f32 v[14:15], v[4:5], v[10:11]
	v_fma_f32 v12, v10, v4, -v14
	v_pk_add_f32 v[16:17], v[4:5], v[10:11]
	v_fmac_f32_e32 v12, v10, v9
	v_mov_b32_e32 v15, v17
	v_fmac_f32_e32 v12, v18, v4
	v_pk_add_f32 v[10:11], v[14:15], v[12:13]
	v_sub_f32_e32 v5, v10, v14
	v_sub_f32_e32 v5, v12, v5
	;; [unrolled: 1-line block ×3, first 2 shown]
	v_add_f32_e32 v15, v17, v12
	v_mov_b32_e32 v12, v11
	v_pk_mul_f32 v[12:13], v[10:11], v[12:13]
	v_cvt_f64_f32_e32 v[16:17], v3
	v_frexp_exp_i32_f64_e32 v13, v[16:17]
	v_subbrev_co_u32_e64 v13, s[0:1], 0, v13, s[0:1]
	v_cvt_f32_i32_e32 v13, v13
	v_fma_f32 v14, v10, v11, -v12
	v_fmac_f32_e32 v14, v10, v15
	s_mov_b32 s52, 0x3f317218
	v_mul_f32_e32 v10, 0x3f317218, v13
	v_fmac_f32_e32 v14, v5, v11
	v_fma_f32 v16, v13, s52, -v10
	v_fmac_f32_e32 v16, 0xb102e308, v13
	v_ldexp_f32 v17, v4, 1
	v_add_f32_e32 v11, v12, v14
	v_pk_add_f32 v[4:5], v[10:11], v[16:17]
	v_mov_b32_e32 v18, v11
	v_mov_b32_e32 v19, v5
	;; [unrolled: 1-line block ×3, first 2 shown]
	v_pk_add_f32 v[12:13], v[18:19], v[12:13] neg_lo:[0,1] neg_hi:[0,1]
	v_mov_b32_e32 v15, v11
	v_ldexp_f32 v9, v9, 1
	v_pk_add_f32 v[12:13], v[14:15], v[12:13] neg_lo:[0,1] neg_hi:[0,1]
	v_add_f32_e32 v9, v9, v12
	v_add_f32_e32 v11, v9, v13
	v_pk_add_f32 v[12:13], v[4:5], v[10:11] neg_lo:[0,1] neg_hi:[0,1]
	v_pk_add_f32 v[14:15], v[4:5], v[10:11]
	v_mov_b32_e32 v18, v12
	v_mov_b32_e32 v19, v15
	;; [unrolled: 1-line block ×3, first 2 shown]
	v_pk_add_f32 v[18:19], v[16:17], v[18:19]
	v_mov_b32_e32 v10, v19
	v_pk_add_f32 v[20:21], v[10:11], v[4:5] neg_lo:[0,1] neg_hi:[0,1]
	v_mov_b32_e32 v8, 0x3e91f4c4
	v_mov_b32_e32 v9, v20
	v_mov_b32_e32 v18, v15
	v_mov_b32_e32 v4, v5
	v_mov_b32_e32 v5, v20
	v_pk_add_f32 v[12:13], v[16:17], v[12:13] neg_lo:[0,1] neg_hi:[0,1]
	v_pk_add_f32 v[22:23], v[14:15], v[8:9] neg_lo:[0,1] neg_hi:[0,1]
	;; [unrolled: 1-line block ×3, first 2 shown]
	v_mov_b32_e32 v16, v11
	v_pk_add_f32 v[4:5], v[16:17], v[4:5] neg_lo:[0,1] neg_hi:[0,1]
	v_mov_b32_e32 v22, v12
	v_pk_add_f32 v[14:15], v[22:23], v[4:5]
	v_mov_b32_e32 v16, v15
	v_pk_add_f32 v[16:17], v[14:15], v[16:17]
	v_pk_add_f32 v[10:11], v[10:11], v[16:17]
	v_mov_b32_e32 v13, v19
	v_mov_b32_e32 v15, v10
	v_pk_add_f32 v[18:19], v[14:15], v[12:13] neg_lo:[0,1] neg_hi:[0,1]
	v_mov_b32_e32 v5, v16
	v_sub_f32_e32 v9, v14, v18
	v_pk_add_f32 v[4:5], v[4:5], v[18:19] neg_lo:[0,1] neg_hi:[0,1]
	v_sub_f32_e32 v9, v12, v9
	v_add_f32_e32 v4, v4, v9
	v_add_f32_e32 v4, v4, v5
	v_add_f32_e32 v5, v10, v4
	v_sub_f32_e32 v9, v5, v10
	v_mul_f32_e32 v12, v25, v5
	v_sub_f32_e32 v4, v4, v9
	v_fma_f32 v5, v25, v5, -v12
	v_fmac_f32_e32 v5, v25, v4
	s_movk_i32 s45, 0x204
	v_add_f32_e32 v13, v12, v5
	v_cmp_class_f32_e64 s[0:1], v12, s45
	v_cndmask_b32_e64 v4, v13, v12, s[0:1]
	s_mov_b32 s48, 0x42b17218
	s_load_dword s33, s[2:3], 0x0
	v_mov_b32_e32 v9, 0x37000000
	v_cmp_eq_f32_e64 s[2:3], s48, v4
	v_trunc_f32_e32 v10, v25
	v_cndmask_b32_e64 v11, 0, v9, s[2:3]
	v_cmp_eq_f32_e64 s[2:3], v10, v25
	v_mul_f32_e32 v10, 0.5, v25
	s_mov_b32 s36, 0x7f800000
	v_trunc_f32_e32 v15, v10
	v_cmp_neq_f32_e64 s[0:1], |v4|, s36
	v_sub_f32_e32 v14, v4, v11
	s_mov_b32 s49, 0xc2ce8ed0
	v_cndmask_b32_e64 v4, v26, 1.0, vcc
	v_cmp_neq_f32_e64 s[24:25], v15, v10
	v_cndmask_b32_e64 v10, |v24|, 1.0, s[46:47]
	v_cmp_ngt_f32_e64 s[54:55], s41, 1.0
	v_mov_b32_e32 v1, 1.0
	s_mov_b32 s50, 0x3fb8aa3b
	v_cmp_ngt_f32_e64 s[20:21], s49, v14
	v_cmp_nlt_f32_e64 s[18:19], s48, v14
	s_brev_b32 s31, -2
	v_cmp_gt_f32_e64 s[14:15], 0, v4
	v_cmp_eq_f32_e64 s[12:13], s36, v10
	v_cmp_eq_f32_e64 s[16:17], 1.0, v3
	v_cmp_neq_f32_e64 s[26:27], v25, v10
	v_cmp_gt_f32_e64 s[28:29], 1.0, v3
	v_cmp_eq_f32_e64 s[6:7], s36, v3
	v_cmp_eq_f32_e64 s[8:9], 0, v4
	v_cmp_gt_f32_e64 s[22:23], 0, v25
	v_cmp_o_f32_e64 s[10:11], v4, v25
	s_and_b64 vcc, exec, s[54:55]
	s_cbranch_vccnz .LBB10_3
; %bb.2:
	v_mov_b32_e32 v3, 0x800000
	v_mov_b32_e32 v4, 0x4f800000
	v_cmp_lt_f32_e64 s[0:1], s40, v3
	v_cndmask_b32_e64 v5, 1.0, v4, s[0:1]
	v_mul_f32_e32 v5, s40, v5
	v_log_f32_e32 v5, v5
	v_mov_b32_e32 v12, 0x40c90fdb
	v_mul_f32_e32 v13, s43, v12
	v_div_scale_f32 v14, s[2:3], v13, v13, s42
	v_rcp_f32_e32 v15, v14
	s_mov_b32 s8, 0x3f317217
	v_mul_f32_e32 v11, 0x3f317217, v5
	v_fma_f32 v16, v5, s8, -v11
	v_fmac_f32_e32 v16, 0x3377d1cf, v5
	v_add_f32_e32 v11, v11, v16
	v_fma_f32 v16, -v14, v15, 1.0
	v_fmac_f32_e32 v15, v16, v15
	v_div_scale_f32 v16, vcc, s42, v13, s42
	v_mul_f32_e32 v17, v16, v15
	v_fma_f32 v18, -v14, v17, v16
	v_fmac_f32_e32 v17, v18, v15
	v_fma_f32 v14, -v14, v17, v16
	v_div_fmas_f32 v14, v14, v15, v17
	s_mov_b32 s7, 0x800000
	v_div_fixup_f32 v13, v14, v13, s42
	v_cmp_gt_f32_e32 vcc, s7, v13
	v_cndmask_b32_e32 v14, 1.0, v4, vcc
	v_mul_f32_e32 v13, v13, v14
	v_log_f32_e32 v13, v13
	v_mov_b32_e32 v10, 0x41b17218
	v_cmp_lt_f32_e64 s[2:3], |v5|, s36
	v_cndmask_b32_e64 v5, v5, v11, s[2:3]
	v_cndmask_b32_e64 v11, 0, v10, s[0:1]
	v_sub_f32_e32 v5, v5, v11
	v_mul_f32_e32 v11, 0x3f317217, v13
	v_fma_f32 v14, v13, s8, -v11
	v_cvt_f32_i32_e32 v1, s30
	v_fmac_f32_e32 v14, 0x3377d1cf, v13
	v_add_f32_e32 v11, v11, v14
	v_cmp_lt_f32_e64 s[0:1], |v13|, s36
	v_cndmask_b32_e64 v11, v13, v11, s[0:1]
	v_cndmask_b32_e32 v13, 0, v10, vcc
	v_sub_f32_e32 v11, v11, v13
	v_mul_f32_e32 v11, v11, v1
	v_div_scale_f32 v13, s[0:1], v5, v5, v11
	v_rcp_f32_e32 v14, v13
	v_cmp_lt_f32_e64 s[0:1], s41, v3
	s_load_dword s6, s[4:5], 0x60
	v_cndmask_b32_e64 v3, 1.0, v4, s[0:1]
	v_mul_f32_e32 v3, s41, v3
	v_log_f32_e32 v15, v3
	v_fma_f32 v3, -v13, v14, 1.0
	v_fmac_f32_e32 v14, v3, v14
	v_div_scale_f32 v3, vcc, v11, v5, v11
	v_mul_f32_e32 v16, v3, v14
	v_fma_f32 v17, -v13, v16, v3
	s_waitcnt lgkmcnt(0)
	v_mul_f32_e32 v12, s6, v12
	v_fmac_f32_e32 v16, v17, v14
	v_div_scale_f32 v17, s[2:3], v12, v12, s42
	v_rcp_f32_e32 v18, v17
	v_fma_f32 v3, -v13, v16, v3
	v_div_fmas_f32 v3, v3, v14, v16
	v_mov_b32_e32 v26, s40
	v_fma_f32 v13, -v17, v18, 1.0
	v_fmac_f32_e32 v18, v13, v18
	v_div_scale_f32 v13, vcc, s42, v12, s42
	v_mul_f32_e32 v14, v13, v18
	v_fma_f32 v16, -v17, v14, v13
	v_fmac_f32_e32 v14, v16, v18
	v_fma_f32 v13, -v17, v14, v13
	v_div_fmas_f32 v13, v13, v18, v14
	v_div_fixup_f32 v12, v13, v12, s42
	v_cmp_gt_f32_e32 vcc, s7, v12
	v_cndmask_b32_e32 v4, 1.0, v4, vcc
	v_mul_f32_e32 v4, v12, v4
	v_log_f32_e32 v4, v4
	v_mul_f32_e32 v12, 0x3f317217, v15
	v_fma_f32 v13, v15, s8, -v12
	v_fmac_f32_e32 v13, 0x3377d1cf, v15
	v_mul_f32_e32 v14, 0x3f317217, v4
	v_fma_f32 v16, v4, s8, -v14
	v_fmac_f32_e32 v16, 0x3377d1cf, v4
	v_add_f32_e32 v14, v14, v16
	v_cmp_lt_f32_e64 s[2:3], |v4|, s36
	v_cndmask_b32_e64 v4, v4, v14, s[2:3]
	v_cndmask_b32_e32 v14, 0, v10, vcc
	v_sub_f32_e32 v4, v4, v14
	v_mul_f32_e32 v1, v4, v1
	v_div_scale_f32 v14, s[2:3], v5, v5, v1
	v_rcp_f32_e32 v16, v14
	v_div_fixup_f32 v4, v3, v5, v11
	v_add_f32_e32 v12, v12, v13
	v_cndmask_b32_e64 v10, 0, v10, s[0:1]
	v_fma_f32 v3, -v14, v16, 1.0
	v_fmac_f32_e32 v16, v3, v16
	v_div_scale_f32 v3, vcc, v1, v5, v1
	v_mul_f32_e32 v11, v3, v16
	v_fma_f32 v13, -v14, v11, v3
	v_fmac_f32_e32 v11, v13, v16
	v_fma_f32 v3, -v14, v11, v3
	v_div_fmas_f32 v3, v3, v16, v11
	v_div_fixup_f32 v3, v3, v5, v1
	v_pk_add_f32 v[4:5], v[2:3], v[4:5] op_sel_hi:[1,0] neg_lo:[0,1] neg_hi:[0,1]
	v_div_scale_f32 v3, s[2:3], v5, v5, v4
	v_rcp_f32_e32 v11, v3
	v_cmp_lt_f32_e64 vcc, |v15|, s36
	v_cndmask_b32_e32 v1, v15, v12, vcc
	v_sub_f32_e32 v1, v1, v10
	v_fma_f32 v10, -v3, v11, 1.0
	v_fmac_f32_e32 v11, v10, v11
	v_div_scale_f32 v10, vcc, v4, v5, v4
	v_mul_f32_e32 v12, v10, v11
	v_fma_f32 v13, -v3, v12, v10
	v_fmac_f32_e32 v12, v13, v11
	v_add_f32_e32 v13, v2, v2
	v_div_scale_f32 v14, s[0:1], v6, v6, v13
	v_rcp_f32_e32 v15, v14
	v_fma_f32 v2, -v3, v12, v10
	v_div_fmas_f32 v2, v2, v11, v12
	v_div_fixup_f32 v4, v2, v5, v4 clamp
	v_fma_f32 v3, -v14, v15, 1.0
	v_fmac_f32_e32 v15, v3, v15
	v_div_scale_f32 v3, vcc, v13, v6, v13
	v_mul_f32_e32 v10, v3, v15
	v_fma_f32 v11, -v14, v10, v3
	v_fmac_f32_e32 v10, v11, v15
	v_fma_f32 v3, -v14, v10, v3
	v_div_fmas_f32 v3, v3, v15, v10
	v_div_fixup_f32 v24, v3, v6, v13
	v_cndmask_b32_e64 v25, v24, 1.0, s[46:47]
	v_cmp_eq_f32_e32 vcc, 0, v25
	v_cndmask_b32_e64 v27, |v26|, 1.0, vcc
	v_frexp_mant_f32_e32 v3, v27
	v_cmp_gt_f32_e64 s[0:1], s51, v3
	v_cndmask_b32_e64 v6, 1.0, 2.0, s[0:1]
	v_mul_f32_e32 v3, v3, v6
	v_add_f32_e32 v6, 1.0, v3
	v_rcp_f32_e32 v18, v6
	v_add_f32_e32 v10, -1.0, v6
	v_add_f32_e32 v11, -1.0, v3
	v_sub_f32_e32 v10, v3, v10
	v_mul_f32_e32 v3, v11, v18
	v_mul_f32_e32 v12, v6, v3
	v_fma_f32 v14, v3, v6, -v12
	v_fmac_f32_e32 v14, v3, v10
	v_add_f32_e32 v10, v12, v14
	v_sub_f32_e32 v13, v11, v10
	v_pk_add_f32 v[16:17], v[10:11], v[12:13] neg_lo:[0,1] neg_hi:[0,1]
	v_mov_b32_e32 v15, v10
	v_pk_add_f32 v[10:11], v[16:17], v[14:15] neg_lo:[0,1] neg_hi:[0,1]
	v_add_f32_e32 v6, v10, v11
	v_add_f32_e32 v6, v13, v6
	v_mul_f32_e32 v10, v18, v6
	v_add_f32_e32 v6, v3, v10
	v_sub_f32_e32 v3, v6, v3
	v_sub_f32_e32 v3, v10, v3
	v_mul_f32_e32 v11, v6, v6
	v_fma_f32 v12, v6, v6, -v11
	v_add_f32_e32 v10, v3, v3
	v_fmac_f32_e32 v12, v6, v10
	v_add_f32_e32 v10, v11, v12
	v_fmac_f32_e32 v8, 0x3e76c4e1, v10
	v_fmac_f32_e32 v7, v10, v8
	v_sub_f32_e32 v8, v10, v11
	v_mul_f32_e32 v11, v10, v7
	v_sub_f32_e32 v8, v12, v8
	v_fma_f32 v12, v10, v7, -v11
	v_fmac_f32_e32 v12, v8, v7
	v_add_f32_e32 v14, v11, v12
	v_add_f32_e32 v13, 0x3f2aaaaa, v14
	v_sub_f32_e32 v7, v14, v11
	v_sub_f32_e32 v7, v12, v7
	v_add_f32_e32 v11, 0xbf2aaaaa, v13
	v_add_f32_e32 v7, 0x31739010, v7
	v_sub_f32_e32 v11, v14, v11
	v_pk_mul_f32 v[14:15], v[6:7], v[10:11]
	v_fma_f32 v12, v10, v6, -v14
	v_pk_add_f32 v[16:17], v[6:7], v[10:11]
	v_fmac_f32_e32 v12, v10, v3
	v_mov_b32_e32 v15, v17
	v_fmac_f32_e32 v12, v8, v6
	v_pk_add_f32 v[10:11], v[14:15], v[12:13]
	v_sub_f32_e32 v8, v13, v11
	v_sub_f32_e32 v7, v10, v14
	v_add_f32_e32 v16, v17, v8
	v_mov_b32_e32 v8, v11
	v_cvt_f64_f32_e32 v[14:15], v27
	v_sub_f32_e32 v7, v12, v7
	v_pk_mul_f32 v[12:13], v[10:11], v[8:9]
	v_frexp_exp_i32_f64_e32 v8, v[14:15]
	v_subbrev_co_u32_e64 v8, s[0:1], 0, v8, s[0:1]
	v_cvt_f32_i32_e32 v8, v8
	v_fma_f32 v14, v10, v11, -v12
	v_fmac_f32_e32 v14, v10, v16
	v_fmac_f32_e32 v14, v7, v11
	v_mul_f32_e32 v10, 0x3f317218, v8
	v_fma_f32 v16, v8, s52, -v10
	v_fmac_f32_e32 v16, 0xb102e308, v8
	v_ldexp_f32 v17, v6, 1
	v_add_f32_e32 v11, v12, v14
	v_pk_add_f32 v[6:7], v[10:11], v[16:17]
	v_mov_b32_e32 v18, v11
	v_mov_b32_e32 v19, v7
	;; [unrolled: 1-line block ×3, first 2 shown]
	v_pk_add_f32 v[12:13], v[18:19], v[12:13] neg_lo:[0,1] neg_hi:[0,1]
	v_mov_b32_e32 v15, v11
	v_ldexp_f32 v3, v3, 1
	v_pk_add_f32 v[12:13], v[14:15], v[12:13] neg_lo:[0,1] neg_hi:[0,1]
	v_add_f32_e32 v3, v3, v12
	v_add_f32_e32 v11, v3, v13
	v_pk_add_f32 v[12:13], v[6:7], v[10:11] neg_lo:[0,1] neg_hi:[0,1]
	v_pk_add_f32 v[14:15], v[6:7], v[10:11]
	v_mov_b32_e32 v18, v12
	v_mov_b32_e32 v19, v15
	v_mov_b32_e32 v17, v6
	v_pk_add_f32 v[18:19], v[16:17], v[18:19]
	v_mov_b32_e32 v8, v19
	v_pk_add_f32 v[20:21], v[8:9], v[6:7] neg_lo:[0,1] neg_hi:[0,1]
	v_mov_b32_e32 v3, v20
	v_mov_b32_e32 v18, v15
	;; [unrolled: 1-line block ×4, first 2 shown]
	v_pk_add_f32 v[12:13], v[16:17], v[12:13] neg_lo:[0,1] neg_hi:[0,1]
	v_pk_add_f32 v[22:23], v[14:15], v[2:3] neg_lo:[0,1] neg_hi:[0,1]
	v_pk_add_f32 v[6:7], v[18:19], v[6:7] neg_lo:[0,1] neg_hi:[0,1]
	v_mov_b32_e32 v16, v11
	v_pk_add_f32 v[6:7], v[16:17], v[6:7] neg_lo:[0,1] neg_hi:[0,1]
	v_mov_b32_e32 v22, v12
	v_pk_add_f32 v[10:11], v[22:23], v[6:7]
	v_mov_b32_e32 v14, v11
	v_pk_add_f32 v[14:15], v[10:11], v[14:15]
	v_pk_add_f32 v[16:17], v[8:9], v[14:15]
	v_mov_b32_e32 v13, v19
	v_mov_b32_e32 v11, v16
	v_pk_add_f32 v[18:19], v[10:11], v[12:13] neg_lo:[0,1] neg_hi:[0,1]
	v_mov_b32_e32 v7, v14
	v_sub_f32_e32 v3, v10, v18
	v_pk_add_f32 v[6:7], v[6:7], v[18:19] neg_lo:[0,1] neg_hi:[0,1]
	v_sub_f32_e32 v3, v12, v3
	v_add_f32_e32 v3, v6, v3
	v_add_f32_e32 v3, v3, v7
	v_add_f32_e32 v6, v16, v3
	v_sub_f32_e32 v7, v6, v16
	v_sub_f32_e32 v3, v3, v7
	v_mul_f32_e32 v7, v25, v6
	v_fma_f32 v6, v25, v6, -v7
	v_fmac_f32_e32 v6, v25, v3
	v_add_f32_e32 v3, v7, v6
	v_cmp_class_f32_e64 s[0:1], v7, s45
	v_sub_f32_e32 v8, v3, v7
	v_cndmask_b32_e64 v3, v3, v7, s[0:1]
	v_cmp_eq_f32_e64 s[0:1], s48, v3
	v_cndmask_b32_e64 v7, 0, v9, s[0:1]
	v_sub_f32_e32 v6, v6, v8
	v_sub_f32_e32 v8, v3, v7
	v_mul_f32_e32 v9, 0x3fb8aa3b, v8
	v_fma_f32 v10, v8, s50, -v9
	v_rndne_f32_e32 v11, v9
	v_fmac_f32_e32 v10, 0x32a5705f, v8
	v_sub_f32_e32 v9, v9, v11
	v_add_f32_e32 v9, v9, v10
	v_exp_f32_e32 v9, v9
	v_cvt_i32_f32_e32 v10, v11
	v_cmp_neq_f32_e64 s[0:1], |v3|, s36
	v_cndmask_b32_e64 v3, 0, v6, s[0:1]
	v_cmp_ngt_f32_e64 s[0:1], s49, v8
	v_ldexp_f32 v6, v9, v10
	v_add_f32_e32 v3, v7, v3
	v_cndmask_b32_e64 v6, 0, v6, s[0:1]
	v_mov_b32_e32 v7, 0x7f800000
	v_cmp_nlt_f32_e64 s[0:1], s48, v8
	v_cndmask_b32_e64 v6, v7, v6, s[0:1]
	v_fma_f32 v3, v6, v3, v6
	v_cmp_class_f32_e64 s[0:1], v6, s45
	v_trunc_f32_e32 v8, v25
	v_cndmask_b32_e64 v3, v3, v6, s[0:1]
	v_cndmask_b32_e64 v6, v26, 1.0, vcc
	v_cmp_eq_f32_e32 vcc, v8, v25
	v_mul_f32_e32 v8, 0.5, v25
	v_trunc_f32_e32 v10, v8
	v_cmp_neq_f32_e64 s[0:1], v10, v8
	s_and_b64 s[0:1], vcc, s[0:1]
	v_cndmask_b32_e64 v8, 1.0, v6, s[0:1]
	v_mov_b32_e32 v9, 0x7fc00000
	v_bfi_b32 v3, s31, v3, v8
	v_cndmask_b32_e32 v8, v9, v3, vcc
	v_cmp_gt_f32_e32 vcc, 0, v6
	v_cndmask_b32_e32 v3, v3, v8, vcc
	v_cndmask_b32_e64 v8, |v24|, 1.0, s[46:47]
	v_cmp_neq_f32_e32 vcc, v25, v8
	v_cmp_gt_f32_e64 s[2:3], 1.0, v27
	s_xor_b64 s[2:3], vcc, s[2:3]
	v_cndmask_b32_e64 v10, v8, 0, s[2:3]
	v_cmp_eq_f32_e32 vcc, 1.0, v27
	v_cmp_eq_f32_e64 s[2:3], 0, v6
	v_cmp_gt_f32_e64 s[6:7], 0, v25
	v_cndmask_b32_e32 v10, v10, v27, vcc
	v_cmp_eq_f32_e32 vcc, s36, v8
	s_xor_b64 s[6:7], s[6:7], s[2:3]
	v_cndmask_b32_e32 v3, v3, v10, vcc
	v_cmp_eq_f32_e32 vcc, s36, v27
	v_cndmask_b32_e64 v7, v7, 0, s[6:7]
	v_cndmask_b32_e64 v8, 0, v6, s[0:1]
	v_bfi_b32 v7, s31, v7, v8
	s_or_b64 vcc, vcc, s[2:3]
	v_cndmask_b32_e32 v3, v3, v7, vcc
	v_cmp_o_f32_e32 vcc, v6, v25
	v_cndmask_b32_e32 v3, v9, v3, vcc
	v_mul_f32_e32 v6, s41, v3
	v_div_scale_f32 v7, s[0:1], v6, v6, 1.0
	v_rcp_f32_e32 v8, v7
	s_mov_b32 s0, 0x3dcccccd
	v_fma_f32 v1, v1, s0, 1.0
	v_fma_f32 v2, -v7, v8, 1.0
	v_fmac_f32_e32 v8, v2, v8
	v_div_scale_f32 v2, vcc, 1.0, v6, 1.0
	v_mul_f32_e32 v5, v2, v8
	v_fma_f32 v9, -v7, v5, v2
	v_fmac_f32_e32 v5, v9, v8
	v_fma_f32 v2, -v7, v5, v2
	v_div_scale_f32 v7, s[0:1], v3, v3, 1.0
	v_rcp_f32_e32 v9, v7
	v_div_fmas_f32 v2, v2, v8, v5
	v_div_fixup_f32 v2, v2, v6, 1.0
	v_mul_f32_e32 v2, v4, v2
	v_fma_f32 v5, -v7, v9, 1.0
	v_fmac_f32_e32 v9, v5, v9
	v_div_scale_f32 v5, vcc, 1.0, v3, 1.0
	v_mul_f32_e32 v6, v5, v9
	v_fma_f32 v8, -v7, v6, v5
	v_fmac_f32_e32 v6, v8, v9
	v_fma_f32 v5, -v7, v6, v5
	v_div_fmas_f32 v5, v5, v9, v6
	v_div_fixup_f32 v3, v5, v3, 1.0
	v_sub_f32_e32 v4, 1.0, v4
	v_fmac_f32_e32 v2, v4, v3
	s_branch .LBB10_4
.LBB10_3:
	v_mul_f32_e32 v6, 0x3fb8aa3b, v14
	v_fma_f32 v7, v14, s50, -v6
	v_rndne_f32_e32 v8, v6
	v_fmac_f32_e32 v7, 0x32a5705f, v14
	v_sub_f32_e32 v6, v6, v8
	v_add_f32_e32 v6, v6, v7
	v_exp_f32_e32 v6, v6
	v_cvt_i32_f32_e32 v7, v8
	v_sub_f32_e32 v2, v13, v12
	v_sub_f32_e32 v2, v5, v2
	v_cndmask_b32_e64 v2, 0, v2, s[0:1]
	v_ldexp_f32 v5, v6, v7
	v_cndmask_b32_e64 v5, 0, v5, s[20:21]
	v_mov_b32_e32 v6, 0x7f800000
	v_add_f32_e32 v2, v11, v2
	v_cndmask_b32_e64 v5, v6, v5, s[18:19]
	v_fma_f32 v2, v5, v2, v5
	v_cmp_class_f32_e64 vcc, v5, s45
	v_cndmask_b32_e32 v2, v2, v5, vcc
	s_and_b64 vcc, s[2:3], s[24:25]
	v_cndmask_b32_e32 v5, 1.0, v4, vcc
	v_bfi_b32 v2, s31, v2, v5
	v_mov_b32_e32 v5, 0x7fc00000
	v_cndmask_b32_e64 v7, v5, v2, s[2:3]
	s_xor_b64 s[0:1], s[26:27], s[28:29]
	v_cndmask_b32_e64 v2, v2, v7, s[14:15]
	v_cndmask_b32_e64 v7, v10, 0, s[0:1]
	;; [unrolled: 1-line block ×3, first 2 shown]
	s_xor_b64 s[0:1], s[22:23], s[8:9]
	v_cndmask_b32_e64 v2, v2, v3, s[12:13]
	v_cndmask_b32_e64 v3, v6, 0, s[0:1]
	v_cndmask_b32_e32 v4, 0, v4, vcc
	v_bfi_b32 v3, s31, v3, v4
	s_or_b64 vcc, s[6:7], s[8:9]
	v_cndmask_b32_e32 v2, v2, v3, vcc
	v_cndmask_b32_e64 v2, v5, v2, s[10:11]
.LBB10_4:
	s_waitcnt lgkmcnt(0)
	v_cvt_f32_i32_e32 v3, s33
	s_brev_b32 s0, 18
                                        ; implicit-def: $vgpr5
                                        ; implicit-def: $vgpr4
	v_mul_f32_e32 v2, v2, v3
	v_and_b32_e32 v3, 0x7fffffff, v2
	v_cmp_nlt_f32_e64 s[0:1], |v2|, s0
	s_and_saveexec_b64 s[2:3], s[0:1]
	s_xor_b64 s[8:9], exec, s[2:3]
	s_cbranch_execz .LBB10_6
; %bb.5:
	v_lshrrev_b32_e32 v4, 23, v3
	v_add_u32_e32 v4, 0xffffff88, v4
	v_not_b32_e32 v6, 63
	v_cmp_lt_u32_e32 vcc, 63, v4
	v_cndmask_b32_e32 v6, 0, v6, vcc
	v_add_u32_e32 v4, v6, v4
	v_not_b32_e32 v6, 31
	v_cmp_lt_u32_e64 s[0:1], 31, v4
	v_cndmask_b32_e64 v7, 0, v6, s[0:1]
	v_add_u32_e32 v4, v7, v4
	v_cmp_lt_u32_e64 s[2:3], 31, v4
	v_cndmask_b32_e64 v6, 0, v6, s[2:3]
	v_add_u32_e32 v18, v6, v4
	v_and_b32_e32 v4, 0x7fffff, v3
	v_or_b32_e32 v19, 0x800000, v4
	s_mov_b32 s6, 0xfe5163ab
	v_mad_u64_u32 v[6:7], s[6:7], v19, s6, 0
	v_mov_b32_e32 v5, 0
	v_mov_b32_e32 v4, v7
	s_mov_b32 s6, 0x3c439041
	v_mad_u64_u32 v[8:9], s[6:7], v19, s6, v[4:5]
	v_mov_b32_e32 v4, v9
	s_mov_b32 s6, 0xdb629599
	v_mad_u64_u32 v[10:11], s[6:7], v19, s6, v[4:5]
	;; [unrolled: 3-line block ×6, first 2 shown]
	v_cndmask_b32_e32 v7, v16, v12, vcc
	v_cndmask_b32_e32 v4, v4, v14, vcc
	;; [unrolled: 1-line block ×3, first 2 shown]
	v_cndmask_b32_e64 v9, v4, v7, s[0:1]
	v_cndmask_b32_e64 v4, v5, v4, s[0:1]
	v_cndmask_b32_e32 v5, v14, v10, vcc
	v_cndmask_b32_e64 v7, v7, v5, s[0:1]
	v_cndmask_b32_e64 v4, v4, v9, s[2:3]
	;; [unrolled: 1-line block ×3, first 2 shown]
	v_sub_u32_e32 v11, 32, v18
	v_alignbit_b32 v13, v4, v9, v11
	v_cmp_eq_u32_e64 s[6:7], 0, v18
	v_cndmask_b32_e64 v13, v13, v4, s[6:7]
	v_cndmask_b32_e32 v4, v12, v8, vcc
	v_cndmask_b32_e64 v5, v5, v4, s[0:1]
	v_cndmask_b32_e64 v7, v7, v5, s[2:3]
	v_alignbit_b32 v8, v9, v7, v11
	v_cndmask_b32_e32 v6, v10, v6, vcc
	v_cndmask_b32_e64 v8, v8, v9, s[6:7]
	v_bfe_u32 v14, v13, 29, 1
	v_cndmask_b32_e64 v4, v4, v6, s[0:1]
	v_alignbit_b32 v9, v13, v8, 30
	v_sub_u32_e32 v15, 0, v14
	v_cndmask_b32_e64 v4, v5, v4, s[2:3]
	v_xor_b32_e32 v16, v9, v15
	v_alignbit_b32 v5, v7, v4, v11
	v_cndmask_b32_e64 v5, v5, v7, s[6:7]
	v_ffbh_u32_e32 v7, v16
	v_add_u32_e32 v7, 1, v7
	v_cmp_ne_u32_e32 vcc, v9, v15
	v_alignbit_b32 v6, v8, v5, 30
	v_cndmask_b32_e32 v7, 33, v7, vcc
	v_alignbit_b32 v4, v5, v4, 30
	v_xor_b32_e32 v6, v6, v15
	v_sub_u32_e32 v8, 32, v7
	v_xor_b32_e32 v4, v4, v15
	v_alignbit_b32 v9, v16, v6, v8
	v_alignbit_b32 v4, v6, v4, v8
	;; [unrolled: 1-line block ×3, first 2 shown]
	v_ffbh_u32_e32 v6, v5
	v_min_u32_e32 v6, 32, v6
	v_lshrrev_b32_e32 v12, 29, v13
	v_sub_u32_e32 v8, 31, v6
	v_alignbit_b32 v4, v5, v4, v8
	v_lshlrev_b32_e32 v5, 31, v12
	v_or_b32_e32 v8, 0x33800000, v5
	v_add_lshl_u32 v6, v6, v7, 23
	v_lshrrev_b32_e32 v4, 9, v4
	v_sub_u32_e32 v6, v8, v6
	v_or_b32_e32 v4, v6, v4
	v_alignbit_b32 v6, v7, v9, 9
	v_or_b32_e32 v5, v6, v5
	v_xor_b32_e32 v5, 1.0, v5
	s_mov_b32 s0, 0x3fc90fda
	v_mul_f32_e32 v6, 0x3fc90fda, v5
	v_fma_f32 v7, v5, s0, -v6
	v_fmac_f32_e32 v7, 0x33a22168, v5
	v_fmac_f32_e32 v7, 0x3fc90fda, v4
	v_lshrrev_b32_e32 v5, 30, v13
	v_add_f32_e32 v4, v6, v7
	v_add_u32_e32 v5, v14, v5
.LBB10_6:
	s_or_saveexec_b64 s[8:9], s[8:9]
	s_load_dwordx2 s[6:7], s[4:5], 0x78
	s_load_dwordx4 s[0:3], s[4:5], 0x68
	s_xor_b64 exec, exec, s[8:9]
; %bb.7:
	s_mov_b32 s10, 0x3f22f983
	v_mul_f32_e64 v4, |v2|, s10
	v_rndne_f32_e32 v6, v4
	s_mov_b32 s10, 0xbfc90fda
	v_cvt_i32_f32_e32 v5, v6
	v_fma_f32 v4, v6, s10, |v2|
	v_fmac_f32_e32 v4, 0xb3a22168, v6
	v_fmac_f32_e32 v4, 0xa7c234c4, v6
; %bb.8:
	s_or_b64 exec, exec, s[8:9]
	v_mul_f32_e32 v6, v4, v4
	v_mov_b32_e32 v7, 0x3c0881c4
	v_fmac_f32_e32 v7, 0xb94c1982, v6
	v_mov_b32_e32 v8, 0xbe2aaa9d
	v_fmac_f32_e32 v8, v6, v7
	v_mul_f32_e32 v7, v6, v8
	v_fmac_f32_e32 v4, v4, v7
	v_mov_b32_e32 v7, 0xbab64f3b
	v_fmac_f32_e32 v7, 0x37d75334, v6
	v_mov_b32_e32 v8, 0x3d2aabf7
	;; [unrolled: 2-line block ×3, first 2 shown]
	v_fmac_f32_e32 v7, v6, v8
	v_fma_f32 v6, v6, v7, 1.0
	v_lshlrev_b32_e32 v7, 30, v5
	v_and_b32_e32 v5, 1, v5
	v_cmp_eq_u32_e32 vcc, 0, v5
	v_cndmask_b32_e32 v5, v6, v4, vcc
	v_xor_b32_e32 v3, v3, v2
	v_and_b32_e32 v7, 0x80000000, v7
	v_xor_b32_e32 v3, v3, v5
	v_cndmask_b32_e64 v4, -v4, v6, vcc
	s_movk_i32 s8, 0x1f8
	v_xor_b32_e32 v3, v3, v7
	v_xor_b32_e32 v4, v7, v4
	v_mov_b32_e32 v5, 0x7fc00000
	v_cmp_class_f32_e64 vcc, v2, s8
	v_cndmask_b32_e32 v2, v5, v4, vcc
	v_cndmask_b32_e32 v3, v5, v3, vcc
	v_mul_f32_e32 v6, v1, v2
	v_mul_f32_e32 v7, v1, v3
	s_cmp_lt_i32 s37, 1
	v_ashrrev_i32_e32 v1, 31, v0
	s_cbranch_scc1 .LBB10_11
; %bb.9:
	s_load_dwordx2 s[8:9], s[4:5], 0x0
	s_mul_i32 s10, s39, s37
	s_mul_hi_i32 s11, s10, s44
	s_mul_i32 s10, s10, s44
	s_lshl_b64 s[10:11], s[10:11], 2
	s_waitcnt lgkmcnt(0)
	s_add_u32 s10, s8, s10
	s_addc_u32 s11, s9, s11
	s_ashr_i32 s9, s39, 31
	s_mov_b32 s8, s39
	v_lshlrev_b64 v[2:3], 2, v[0:1]
	s_ashr_i32 s31, s30, 31
	v_mov_b32_e32 v4, s11
	v_add_co_u32_e32 v2, vcc, s10, v2
	s_lshl_b64 s[8:9], s[8:9], 2
	s_lshl_b64 s[10:11], s[30:31], 2
	v_addc_co_u32_e32 v3, vcc, v4, v3, vcc
	v_mov_b32_e32 v4, s11
	v_mov_b32_e32 v5, s9
.LBB10_10:                              ; =>This Inner Loop Header: Depth=1
	v_add_co_u32_e32 v8, vcc, s10, v2
	v_addc_co_u32_e32 v9, vcc, v3, v4, vcc
	global_load_dword v10, v[2:3], off
	global_load_dword v11, v[8:9], off
	s_add_i32 s37, s37, -1
	s_cmp_eq_u32 s37, 0
	s_waitcnt vmcnt(1)
	v_mul_f32_e32 v12, v6, v10
	s_waitcnt vmcnt(0)
	v_fma_f32 v12, -v11, v7, v12
	v_mul_f32_e32 v11, v6, v11
	global_store_dword v[2:3], v12, off
	v_add_co_u32_e32 v2, vcc, s8, v2
	v_fmac_f32_e32 v11, v10, v7
	v_addc_co_u32_e32 v3, vcc, v3, v5, vcc
	global_store_dword v[8:9], v11, off
	s_cbranch_scc0 .LBB10_10
.LBB10_11:
	s_load_dwordx2 s[8:9], s[4:5], 0x24
	s_waitcnt lgkmcnt(0)
	s_ashr_i32 s11, s9, 31
	s_mov_b32 s10, s9
	s_lshl_b64 s[12:13], s[10:11], 3
	s_add_u32 s0, s0, s12
	s_addc_u32 s1, s1, s13
	s_lshl_b64 s[10:11], s[10:11], 2
	s_add_u32 s12, s2, s10
	s_addc_u32 s13, s3, s11
	s_add_u32 s6, s6, s10
	s_addc_u32 s7, s7, s11
	s_load_dword s3, s[6:7], 0x0
	s_load_dword s2, s[12:13], 0x0
	s_waitcnt lgkmcnt(0)
	s_cmp_lg_u32 s3, 0
	s_cbranch_scc0 .LBB10_13
; %bb.12:
	s_abs_i32 s3, s2
	v_cvt_f32_u32_e32 v2, s3
	s_sub_i32 s9, 0, s3
	s_abs_i32 s7, s33
	s_ashr_i32 s6, s33, 31
	v_rcp_iflag_f32_e32 v2, v2
	v_mul_f32_e32 v2, 0x4f7ffffe, v2
	v_cvt_u32_f32_e32 v2, v2
	v_readfirstlane_b32 s10, v2
	s_mul_i32 s9, s9, s10
	s_mul_hi_u32 s9, s10, s9
	s_add_i32 s10, s10, s9
	s_mul_hi_u32 s9, s7, s10
	s_mul_i32 s9, s9, s3
	s_sub_i32 s7, s7, s9
	s_sub_i32 s9, s7, s3
	s_cmp_ge_u32 s7, s3
	s_cselect_b32 s7, s9, s7
	s_sub_i32 s9, s7, s3
	s_cmp_ge_u32 s7, s3
	s_cselect_b32 s3, s9, s7
	s_xor_b32 s3, s3, s6
	s_sub_i32 s33, s3, s6
.LBB10_13:
	s_cmp_lt_i32 s38, 1
	s_cbranch_scc1 .LBB10_28
; %bb.14:
	s_load_dword s9, s[4:5], 0x38
	s_load_dwordx2 s[6:7], s[4:5], 0x8
	s_load_dword s3, s[34:35], 0x0
	s_load_dwordx2 s[10:11], s[0:1], 0x0
	v_lshlrev_b64 v[2:3], 1, v[0:1]
	s_waitcnt lgkmcnt(0)
	s_cmp_lg_u32 s9, 0
	s_cselect_b64 s[0:1], -1, 0
	s_ashr_i32 s4, s8, 31
	s_mul_hi_i32 s5, s2, s3
	s_mul_i32 s2, s2, s3
	s_ashr_i32 s3, s33, 31
	s_add_u32 s2, s2, s33
	s_addc_u32 s3, s5, s3
	s_mul_i32 s4, s2, s4
	s_mul_hi_u32 s5, s2, s8
	s_add_i32 s4, s5, s4
	s_mul_i32 s3, s3, s8
	s_add_i32 s4, s4, s3
	s_mul_i32 s2, s2, s8
	s_add_u32 s2, s2, s10
	s_addc_u32 s3, s4, s11
	s_cmp_eq_u32 s9, 0
	s_cselect_b32 s4, 2, 1
	s_lshl_b64 s[2:3], s[2:3], s4
	s_add_u32 s2, s6, s2
	s_addc_u32 s3, s7, s3
	v_mov_b32_e32 v4, s3
	v_add_co_u32_e32 v2, vcc, s2, v2
	v_addc_co_u32_e32 v3, vcc, v4, v3, vcc
	v_lshlrev_b64 v[0:1], 2, v[0:1]
	s_ashr_i32 s7, s39, 31
	s_mov_b32 s6, s39
	v_add_co_u32_e32 v0, vcc, s2, v0
	v_addc_co_u32_e32 v1, vcc, v4, v1, vcc
	s_ashr_i32 s31, s30, 31
	s_lshl_b64 s[2:3], s[6:7], 2
	s_lshl_b64 s[6:7], s[6:7], 1
	v_cndmask_b32_e64 v4, 0, 1, s[0:1]
	s_lshl_b64 s[4:5], s[30:31], 2
	s_lshl_b64 s[8:9], s[30:31], 1
	v_cmp_ne_u32_e64 s[0:1], 1, v4
	s_mov_b32 s12, 0x7f800000
	s_movk_i32 s13, 0x7fff
	v_mov_b32_e32 v8, s3
	v_mov_b32_e32 v9, s7
	;; [unrolled: 1-line block ×3, first 2 shown]
	s_branch .LBB10_16
.LBB10_15:                              ;   in Loop: Header=BB10_16 Depth=1
	v_add_co_u32_e32 v0, vcc, s2, v0
	v_addc_co_u32_e32 v1, vcc, v1, v8, vcc
	s_add_i32 s38, s38, -1
	v_add_co_u32_e32 v2, vcc, s6, v2
	s_cmp_lg_u32 s38, 0
	v_addc_co_u32_e32 v3, vcc, v3, v9, vcc
	s_cbranch_scc0 .LBB10_28
.LBB10_16:                              ; =>This Inner Loop Header: Depth=1
	s_and_b64 vcc, exec, s[0:1]
	s_mov_b64 s[10:11], -1
	s_cbranch_vccnz .LBB10_26
; %bb.17:                               ;   in Loop: Header=BB10_16 Depth=1
	v_mov_b32_e32 v5, s9
	v_add_co_u32_e32 v4, vcc, s8, v2
	v_addc_co_u32_e32 v5, vcc, v3, v5, vcc
	global_load_ushort v11, v[2:3], off
	global_load_ushort v12, v[4:5], off
	s_waitcnt vmcnt(1)
	v_lshlrev_b32_e32 v11, 16, v11
	s_waitcnt vmcnt(0)
	v_lshlrev_b32_e32 v12, 16, v12
	v_mul_f32_e32 v13, v6, v11
	v_fma_f32 v14, -v12, v7, v13
	v_and_b32_e32 v13, 0x7f800000, v14
	v_cmp_ne_u32_e32 vcc, s12, v13
                                        ; implicit-def: $vgpr13
	s_and_saveexec_b64 s[10:11], vcc
	s_xor_b64 s[10:11], exec, s[10:11]
; %bb.18:                               ;   in Loop: Header=BB10_16 Depth=1
	v_bfe_u32 v13, v14, 16, 1
	v_add3_u32 v13, v14, v13, s13
                                        ; implicit-def: $vgpr14
; %bb.19:                               ;   in Loop: Header=BB10_16 Depth=1
	s_andn2_saveexec_b64 s[10:11], s[10:11]
; %bb.20:                               ;   in Loop: Header=BB10_16 Depth=1
	v_or_b32_e32 v13, 0x10000, v14
	v_cmp_eq_u32_sdwa vcc, v14, v10 src0_sel:WORD_0 src1_sel:DWORD
	v_cndmask_b32_e32 v13, v13, v14, vcc
; %bb.21:                               ;   in Loop: Header=BB10_16 Depth=1
	s_or_b64 exec, exec, s[10:11]
	v_mul_f32_e32 v12, v6, v12
	v_fmac_f32_e32 v12, v11, v7
	v_and_b32_e32 v11, 0x7f800000, v12
	v_cmp_ne_u32_e32 vcc, s12, v11
	global_store_short_d16_hi v[2:3], v13, off
                                        ; implicit-def: $vgpr11
	s_and_saveexec_b64 s[10:11], vcc
	s_xor_b64 s[10:11], exec, s[10:11]
; %bb.22:                               ;   in Loop: Header=BB10_16 Depth=1
	v_bfe_u32 v11, v12, 16, 1
	v_add3_u32 v11, v12, v11, s13
                                        ; implicit-def: $vgpr12
; %bb.23:                               ;   in Loop: Header=BB10_16 Depth=1
	s_andn2_saveexec_b64 s[10:11], s[10:11]
; %bb.24:                               ;   in Loop: Header=BB10_16 Depth=1
	v_or_b32_e32 v11, 0x10000, v12
	v_cmp_eq_u32_sdwa vcc, v12, v10 src0_sel:WORD_0 src1_sel:DWORD
	v_cndmask_b32_e32 v11, v11, v12, vcc
; %bb.25:                               ;   in Loop: Header=BB10_16 Depth=1
	s_or_b64 exec, exec, s[10:11]
	s_mov_b64 s[10:11], 0
	global_store_short_d16_hi v[4:5], v11, off
.LBB10_26:                              ;   in Loop: Header=BB10_16 Depth=1
	s_and_b64 vcc, exec, s[10:11]
	s_cbranch_vccz .LBB10_15
; %bb.27:                               ;   in Loop: Header=BB10_16 Depth=1
	v_mov_b32_e32 v5, s5
	v_add_co_u32_e32 v4, vcc, s4, v0
	v_addc_co_u32_e32 v5, vcc, v1, v5, vcc
	global_load_dword v11, v[0:1], off
	global_load_dword v12, v[4:5], off
	s_waitcnt vmcnt(1)
	v_mul_f32_e32 v13, v6, v11
	s_waitcnt vmcnt(0)
	v_fma_f32 v13, -v12, v7, v13
	v_mul_f32_e32 v12, v6, v12
	v_fmac_f32_e32 v12, v11, v7
	global_store_dword v[0:1], v13, off
	global_store_dword v[4:5], v12, off
	s_branch .LBB10_15
.LBB10_28:
	s_endpgm
	.section	.rodata,"a",@progbits
	.p2align	6, 0x0
	.amdhsa_kernel _Z14rope_qk_kernelPfPviiiiiiiPKiiS2_xfffffPKxS2_S2_
		.amdhsa_group_segment_fixed_size 0
		.amdhsa_private_segment_fixed_size 0
		.amdhsa_kernarg_size 384
		.amdhsa_user_sgpr_count 6
		.amdhsa_user_sgpr_private_segment_buffer 1
		.amdhsa_user_sgpr_dispatch_ptr 0
		.amdhsa_user_sgpr_queue_ptr 0
		.amdhsa_user_sgpr_kernarg_segment_ptr 1
		.amdhsa_user_sgpr_dispatch_id 0
		.amdhsa_user_sgpr_flat_scratch_init 0
		.amdhsa_user_sgpr_kernarg_preload_length 0
		.amdhsa_user_sgpr_kernarg_preload_offset 0
		.amdhsa_user_sgpr_private_segment_size 0
		.amdhsa_uses_dynamic_stack 0
		.amdhsa_system_sgpr_private_segment_wavefront_offset 0
		.amdhsa_system_sgpr_workgroup_id_x 1
		.amdhsa_system_sgpr_workgroup_id_y 1
		.amdhsa_system_sgpr_workgroup_id_z 0
		.amdhsa_system_sgpr_workgroup_info 0
		.amdhsa_system_vgpr_workitem_id 0
		.amdhsa_next_free_vgpr 28
		.amdhsa_next_free_sgpr 56
		.amdhsa_accum_offset 28
		.amdhsa_reserve_vcc 1
		.amdhsa_reserve_flat_scratch 0
		.amdhsa_float_round_mode_32 0
		.amdhsa_float_round_mode_16_64 0
		.amdhsa_float_denorm_mode_32 3
		.amdhsa_float_denorm_mode_16_64 3
		.amdhsa_dx10_clamp 1
		.amdhsa_ieee_mode 1
		.amdhsa_fp16_overflow 0
		.amdhsa_tg_split 0
		.amdhsa_exception_fp_ieee_invalid_op 0
		.amdhsa_exception_fp_denorm_src 0
		.amdhsa_exception_fp_ieee_div_zero 0
		.amdhsa_exception_fp_ieee_overflow 0
		.amdhsa_exception_fp_ieee_underflow 0
		.amdhsa_exception_fp_ieee_inexact 0
		.amdhsa_exception_int_div_zero 0
	.end_amdhsa_kernel
	.text
.Lfunc_end10:
	.size	_Z14rope_qk_kernelPfPviiiiiiiPKiiS2_xfffffPKxS2_S2_, .Lfunc_end10-_Z14rope_qk_kernelPfPviiiiiiiPKiiS2_xfffffPKxS2_S2_
                                        ; -- End function
	.section	.AMDGPU.csdata,"",@progbits
; Kernel info:
; codeLenInByte = 5224
; NumSgprs: 60
; NumVgprs: 28
; NumAgprs: 0
; TotalNumVgprs: 28
; ScratchSize: 0
; MemoryBound: 0
; FloatMode: 240
; IeeeMode: 1
; LDSByteSize: 0 bytes/workgroup (compile time only)
; SGPRBlocks: 7
; VGPRBlocks: 3
; NumSGPRsForWavesPerEU: 60
; NumVGPRsForWavesPerEU: 28
; AccumOffset: 28
; Occupancy: 8
; WaveLimiterHint : 0
; COMPUTE_PGM_RSRC2:SCRATCH_EN: 0
; COMPUTE_PGM_RSRC2:USER_SGPR: 6
; COMPUTE_PGM_RSRC2:TRAP_HANDLER: 0
; COMPUTE_PGM_RSRC2:TGID_X_EN: 1
; COMPUTE_PGM_RSRC2:TGID_Y_EN: 1
; COMPUTE_PGM_RSRC2:TGID_Z_EN: 0
; COMPUTE_PGM_RSRC2:TIDIG_COMP_CNT: 0
; COMPUTE_PGM_RSRC3_GFX90A:ACCUM_OFFSET: 6
; COMPUTE_PGM_RSRC3_GFX90A:TG_SPLIT: 0
	.text
	.protected	_Z23count_tokens_per_expertPKiPKfiiPiS3_PfS3_i ; -- Begin function _Z23count_tokens_per_expertPKiPKfiiPiS3_PfS3_i
	.globl	_Z23count_tokens_per_expertPKiPKfiiPiS3_PfS3_i
	.p2align	8
	.type	_Z23count_tokens_per_expertPKiPKfiiPiS3_PfS3_i,@function
_Z23count_tokens_per_expertPKiPKfiiPiS3_PfS3_i: ; @_Z23count_tokens_per_expertPKiPKfiiPiS3_PfS3_i
; %bb.0:
	s_load_dword s0, s[4:5], 0x4c
	s_load_dwordx2 s[12:13], s[4:5], 0x10
	s_waitcnt lgkmcnt(0)
	s_and_b32 s0, s0, 0xffff
	s_mul_i32 s6, s6, s0
	v_add_u32_e32 v0, s6, v0
	s_mul_i32 s0, s13, s12
	v_cmp_gt_i32_e32 vcc, s0, v0
	s_and_saveexec_b64 s[0:1], vcc
	s_cbranch_execz .LBB11_3
; %bb.1:
	s_load_dwordx4 s[8:11], s[4:5], 0x0
	s_load_dwordx4 s[0:3], s[4:5], 0x18
	v_ashrrev_i32_e32 v1, 31, v0
	v_lshlrev_b64 v[4:5], 2, v[0:1]
	s_waitcnt lgkmcnt(0)
	v_mov_b32_e32 v1, s9
	v_add_co_u32_e32 v2, vcc, s8, v4
	v_addc_co_u32_e32 v3, vcc, v1, v5, vcc
	global_load_dword v2, v[2:3], off
	v_mov_b32_e32 v1, s11
	v_add_co_u32_e32 v6, vcc, s10, v4
	v_addc_co_u32_e32 v7, vcc, v1, v5, vcc
	global_load_dword v3, v[6:7], off
	s_abs_i32 s9, s13
	v_cvt_f32_u32_e32 v7, s9
	v_xor_b32_e32 v1, s13, v0
	v_sub_u32_e32 v6, 0, v0
	s_load_dwordx2 s[6:7], s[4:5], 0x28
	s_load_dword s8, s[4:5], 0x38
	v_rcp_iflag_f32_e32 v10, v7
	v_ashrrev_i32_e32 v8, 31, v1
	v_max_i32_e32 v9, v0, v6
	v_mov_b32_e32 v1, s1
	v_add_co_u32_e32 v0, vcc, s0, v4
	v_mul_f32_e32 v10, 0x4f7ffffe, v10
	v_addc_co_u32_e32 v1, vcc, v1, v5, vcc
	v_cvt_u32_f32_e32 v10, v10
	v_mov_b32_e32 v7, s3
	v_add_co_u32_e32 v6, vcc, s2, v4
	v_addc_co_u32_e32 v7, vcc, v7, v5, vcc
	s_sub_i32 s10, 0, s9
	s_waitcnt lgkmcnt(0)
	v_mov_b32_e32 v11, s7
	v_add_co_u32_e32 v4, vcc, s6, v4
	v_addc_co_u32_e32 v5, vcc, v11, v5, vcc
	v_mul_lo_u32 v11, s10, v10
	v_mul_hi_u32 v11, v10, v11
	v_add_u32_e32 v10, v10, v11
	v_mul_hi_u32 v10, v9, v10
	v_mul_lo_u32 v11, v10, s9
	v_sub_u32_e32 v9, v9, v11
	v_add_u32_e32 v12, 1, v10
	v_cmp_le_u32_e32 vcc, s9, v9
	v_subrev_u32_e32 v11, s9, v9
	v_cndmask_b32_e32 v10, v10, v12, vcc
	v_cndmask_b32_e32 v9, v9, v11, vcc
	v_add_u32_e32 v11, 1, v10
	v_cmp_le_u32_e32 vcc, s9, v9
	v_cndmask_b32_e32 v9, v10, v11, vcc
	v_xor_b32_e32 v9, v9, v8
	v_sub_u32_e32 v8, v9, v8
	global_store_dword v[6:7], v8, off
	s_waitcnt vmcnt(2)
	global_store_dword v[0:1], v2, off
	s_waitcnt vmcnt(2)
	global_store_dword v[4:5], v3, off
	v_cmp_gt_u32_e32 vcc, s8, v2
	s_and_b64 exec, exec, vcc
	s_cbranch_execz .LBB11_3
; %bb.2:
	s_load_dwordx2 s[0:1], s[4:5], 0x30
	v_ashrrev_i32_e32 v3, 31, v2
	v_lshlrev_b64 v[0:1], 2, v[2:3]
	s_waitcnt lgkmcnt(0)
	v_mov_b32_e32 v2, s1
	v_add_co_u32_e32 v0, vcc, s0, v0
	v_addc_co_u32_e32 v1, vcc, v2, v1, vcc
	v_mov_b32_e32 v2, 1
	global_atomic_add v[0:1], v2, off
.LBB11_3:
	s_endpgm
	.section	.rodata,"a",@progbits
	.p2align	6, 0x0
	.amdhsa_kernel _Z23count_tokens_per_expertPKiPKfiiPiS3_PfS3_i
		.amdhsa_group_segment_fixed_size 0
		.amdhsa_private_segment_fixed_size 0
		.amdhsa_kernarg_size 320
		.amdhsa_user_sgpr_count 6
		.amdhsa_user_sgpr_private_segment_buffer 1
		.amdhsa_user_sgpr_dispatch_ptr 0
		.amdhsa_user_sgpr_queue_ptr 0
		.amdhsa_user_sgpr_kernarg_segment_ptr 1
		.amdhsa_user_sgpr_dispatch_id 0
		.amdhsa_user_sgpr_flat_scratch_init 0
		.amdhsa_user_sgpr_kernarg_preload_length 0
		.amdhsa_user_sgpr_kernarg_preload_offset 0
		.amdhsa_user_sgpr_private_segment_size 0
		.amdhsa_uses_dynamic_stack 0
		.amdhsa_system_sgpr_private_segment_wavefront_offset 0
		.amdhsa_system_sgpr_workgroup_id_x 1
		.amdhsa_system_sgpr_workgroup_id_y 0
		.amdhsa_system_sgpr_workgroup_id_z 0
		.amdhsa_system_sgpr_workgroup_info 0
		.amdhsa_system_vgpr_workitem_id 0
		.amdhsa_next_free_vgpr 13
		.amdhsa_next_free_sgpr 14
		.amdhsa_accum_offset 16
		.amdhsa_reserve_vcc 1
		.amdhsa_reserve_flat_scratch 0
		.amdhsa_float_round_mode_32 0
		.amdhsa_float_round_mode_16_64 0
		.amdhsa_float_denorm_mode_32 3
		.amdhsa_float_denorm_mode_16_64 3
		.amdhsa_dx10_clamp 1
		.amdhsa_ieee_mode 1
		.amdhsa_fp16_overflow 0
		.amdhsa_tg_split 0
		.amdhsa_exception_fp_ieee_invalid_op 0
		.amdhsa_exception_fp_denorm_src 0
		.amdhsa_exception_fp_ieee_div_zero 0
		.amdhsa_exception_fp_ieee_overflow 0
		.amdhsa_exception_fp_ieee_underflow 0
		.amdhsa_exception_fp_ieee_inexact 0
		.amdhsa_exception_int_div_zero 0
	.end_amdhsa_kernel
	.text
.Lfunc_end11:
	.size	_Z23count_tokens_per_expertPKiPKfiiPiS3_PfS3_i, .Lfunc_end11-_Z23count_tokens_per_expertPKiPKfiiPiS3_PfS3_i
                                        ; -- End function
	.section	.AMDGPU.csdata,"",@progbits
; Kernel info:
; codeLenInByte = 400
; NumSgprs: 18
; NumVgprs: 13
; NumAgprs: 0
; TotalNumVgprs: 13
; ScratchSize: 0
; MemoryBound: 0
; FloatMode: 240
; IeeeMode: 1
; LDSByteSize: 0 bytes/workgroup (compile time only)
; SGPRBlocks: 2
; VGPRBlocks: 1
; NumSGPRsForWavesPerEU: 18
; NumVGPRsForWavesPerEU: 13
; AccumOffset: 16
; Occupancy: 8
; WaveLimiterHint : 1
; COMPUTE_PGM_RSRC2:SCRATCH_EN: 0
; COMPUTE_PGM_RSRC2:USER_SGPR: 6
; COMPUTE_PGM_RSRC2:TRAP_HANDLER: 0
; COMPUTE_PGM_RSRC2:TGID_X_EN: 1
; COMPUTE_PGM_RSRC2:TGID_Y_EN: 0
; COMPUTE_PGM_RSRC2:TGID_Z_EN: 0
; COMPUTE_PGM_RSRC2:TIDIG_COMP_CNT: 0
; COMPUTE_PGM_RSRC3_GFX90A:ACCUM_OFFSET: 3
; COMPUTE_PGM_RSRC3_GFX90A:TG_SPLIT: 0
	.text
	.protected	_Z29exclusive_scan_expert_offsetsPiS_i ; -- Begin function _Z29exclusive_scan_expert_offsetsPiS_i
	.globl	_Z29exclusive_scan_expert_offsetsPiS_i
	.p2align	8
	.type	_Z29exclusive_scan_expert_offsetsPiS_i,@function
_Z29exclusive_scan_expert_offsetsPiS_i: ; @_Z29exclusive_scan_expert_offsetsPiS_i
; %bb.0:
	v_cmp_eq_u32_e32 vcc, 0, v0
	s_and_saveexec_b64 s[0:1], vcc
	s_cbranch_execz .LBB12_8
; %bb.1:
	s_load_dword s9, s[4:5], 0x10
	s_load_dwordx2 s[6:7], s[4:5], 0x8
	v_mov_b32_e32 v3, 0
	s_waitcnt lgkmcnt(0)
	s_cmp_lt_i32 s9, 1
	global_store_dword v3, v3, s[6:7]
	s_cbranch_scc1 .LBB12_8
; %bb.2:
	s_load_dwordx2 s[4:5], s[4:5], 0x0
	s_cmp_lt_u32 s9, 8
	s_mov_b32 s8, 0
	s_cbranch_scc1 .LBB12_5
; %bb.3:
	s_mov_b32 s0, 0
	s_mov_b32 s2, s0
	;; [unrolled: 1-line block ×4, first 2 shown]
	v_pk_mov_b32 v[6:7], s[2:3], s[2:3] op_sel:[0,1]
	s_and_b32 s8, s9, 0x7ffffff8
	s_mov_b64 s[10:11], 0
	v_mov_b32_e32 v3, 0
	v_mov_b32_e32 v8, 0
	v_pk_mov_b32 v[4:5], s[0:1], s[0:1] op_sel:[0,1]
.LBB12_4:                               ; =>This Inner Loop Header: Depth=1
	s_waitcnt lgkmcnt(0)
	s_add_u32 s2, s4, s10
	s_addc_u32 s3, s5, s11
	global_load_dwordx4 v[10:13], v8, s[2:3]
	global_load_dwordx4 v[14:17], v8, s[2:3] offset:16
	s_add_u32 s12, s6, s10
	s_addc_u32 s13, s7, s11
	global_store_dwordx4 v8, v[4:7], s[2:3]
	global_store_dwordx4 v8, v[4:7], s[2:3] offset:16
	s_add_i32 s0, s0, 8
	s_add_u32 s10, s10, 32
	s_addc_u32 s11, s11, 0
	s_cmp_lg_u32 s8, s0
	s_waitcnt vmcnt(3)
	v_add_u32_e32 v0, v10, v3
	v_add_u32_e32 v1, v11, v0
	;; [unrolled: 1-line block ×4, first 2 shown]
	global_store_dwordx4 v8, v[0:3], s[12:13] offset:4
	s_waitcnt vmcnt(3)
	v_add_u32_e32 v0, v14, v3
	v_add_u32_e32 v1, v15, v0
	;; [unrolled: 1-line block ×4, first 2 shown]
	global_store_dwordx4 v8, v[0:3], s[12:13] offset:20
	s_cbranch_scc1 .LBB12_4
.LBB12_5:
	s_and_b32 s10, s9, 7
	s_cmp_eq_u32 s10, 0
	s_mov_b32 s9, 0
	s_cbranch_scc1 .LBB12_8
; %bb.6:
	s_lshl_b64 s[2:3], s[8:9], 2
	s_add_u32 s0, s2, s6
	s_addc_u32 s1, s3, s7
	s_add_u32 s0, s0, 4
	s_addc_u32 s1, s1, 0
	s_waitcnt lgkmcnt(0)
	s_add_u32 s2, s4, s2
	s_addc_u32 s3, s5, s3
	v_mov_b32_e32 v0, 0
.LBB12_7:                               ; =>This Inner Loop Header: Depth=1
	global_load_dword v1, v0, s[2:3]
	s_waitcnt vmcnt(0)
	v_add_u32_e32 v3, v1, v3
	global_store_dword v0, v3, s[0:1]
	s_add_u32 s0, s0, 4
	s_addc_u32 s1, s1, 0
	global_store_dword v0, v0, s[2:3]
	s_add_u32 s2, s2, 4
	s_addc_u32 s3, s3, 0
	s_add_i32 s10, s10, -1
	s_cmp_lg_u32 s10, 0
	s_cbranch_scc1 .LBB12_7
.LBB12_8:
	s_endpgm
	.section	.rodata,"a",@progbits
	.p2align	6, 0x0
	.amdhsa_kernel _Z29exclusive_scan_expert_offsetsPiS_i
		.amdhsa_group_segment_fixed_size 0
		.amdhsa_private_segment_fixed_size 0
		.amdhsa_kernarg_size 20
		.amdhsa_user_sgpr_count 6
		.amdhsa_user_sgpr_private_segment_buffer 1
		.amdhsa_user_sgpr_dispatch_ptr 0
		.amdhsa_user_sgpr_queue_ptr 0
		.amdhsa_user_sgpr_kernarg_segment_ptr 1
		.amdhsa_user_sgpr_dispatch_id 0
		.amdhsa_user_sgpr_flat_scratch_init 0
		.amdhsa_user_sgpr_kernarg_preload_length 0
		.amdhsa_user_sgpr_kernarg_preload_offset 0
		.amdhsa_user_sgpr_private_segment_size 0
		.amdhsa_uses_dynamic_stack 0
		.amdhsa_system_sgpr_private_segment_wavefront_offset 0
		.amdhsa_system_sgpr_workgroup_id_x 1
		.amdhsa_system_sgpr_workgroup_id_y 0
		.amdhsa_system_sgpr_workgroup_id_z 0
		.amdhsa_system_sgpr_workgroup_info 0
		.amdhsa_system_vgpr_workitem_id 0
		.amdhsa_next_free_vgpr 18
		.amdhsa_next_free_sgpr 14
		.amdhsa_accum_offset 20
		.amdhsa_reserve_vcc 1
		.amdhsa_reserve_flat_scratch 0
		.amdhsa_float_round_mode_32 0
		.amdhsa_float_round_mode_16_64 0
		.amdhsa_float_denorm_mode_32 3
		.amdhsa_float_denorm_mode_16_64 3
		.amdhsa_dx10_clamp 1
		.amdhsa_ieee_mode 1
		.amdhsa_fp16_overflow 0
		.amdhsa_tg_split 0
		.amdhsa_exception_fp_ieee_invalid_op 0
		.amdhsa_exception_fp_denorm_src 0
		.amdhsa_exception_fp_ieee_div_zero 0
		.amdhsa_exception_fp_ieee_overflow 0
		.amdhsa_exception_fp_ieee_underflow 0
		.amdhsa_exception_fp_ieee_inexact 0
		.amdhsa_exception_int_div_zero 0
	.end_amdhsa_kernel
	.text
.Lfunc_end12:
	.size	_Z29exclusive_scan_expert_offsetsPiS_i, .Lfunc_end12-_Z29exclusive_scan_expert_offsetsPiS_i
                                        ; -- End function
	.section	.AMDGPU.csdata,"",@progbits
; Kernel info:
; codeLenInByte = 368
; NumSgprs: 18
; NumVgprs: 18
; NumAgprs: 0
; TotalNumVgprs: 18
; ScratchSize: 0
; MemoryBound: 0
; FloatMode: 240
; IeeeMode: 1
; LDSByteSize: 0 bytes/workgroup (compile time only)
; SGPRBlocks: 2
; VGPRBlocks: 2
; NumSGPRsForWavesPerEU: 18
; NumVGPRsForWavesPerEU: 18
; AccumOffset: 20
; Occupancy: 8
; WaveLimiterHint : 0
; COMPUTE_PGM_RSRC2:SCRATCH_EN: 0
; COMPUTE_PGM_RSRC2:USER_SGPR: 6
; COMPUTE_PGM_RSRC2:TRAP_HANDLER: 0
; COMPUTE_PGM_RSRC2:TGID_X_EN: 1
; COMPUTE_PGM_RSRC2:TGID_Y_EN: 0
; COMPUTE_PGM_RSRC2:TGID_Z_EN: 0
; COMPUTE_PGM_RSRC2:TIDIG_COMP_CNT: 0
; COMPUTE_PGM_RSRC3_GFX90A:ACCUM_OFFSET: 4
; COMPUTE_PGM_RSRC3_GFX90A:TG_SPLIT: 0
	.text
	.protected	_Z24compact_by_expert_kernelPKiS0_PKfiS0_PiS3_Pf ; -- Begin function _Z24compact_by_expert_kernelPKiS0_PKfiS0_PiS3_Pf
	.globl	_Z24compact_by_expert_kernelPKiS0_PKfiS0_PiS3_Pf
	.p2align	8
	.type	_Z24compact_by_expert_kernelPKiS0_PKfiS0_PiS3_Pf,@function
_Z24compact_by_expert_kernelPKiS0_PKfiS0_PiS3_Pf: ; @_Z24compact_by_expert_kernelPKiS0_PKfiS0_PiS3_Pf
; %bb.0:
	s_load_dword s0, s[4:5], 0x4c
	s_load_dword s1, s[4:5], 0x18
	s_waitcnt lgkmcnt(0)
	s_and_b32 s0, s0, 0xffff
	s_mul_i32 s6, s6, s0
	v_add_u32_e32 v0, s6, v0
	v_cmp_gt_i32_e32 vcc, s1, v0
	s_and_saveexec_b64 s[0:1], vcc
	s_cbranch_execz .LBB13_2
; %bb.1:
	s_load_dwordx4 s[8:11], s[4:5], 0x0
	s_load_dwordx2 s[12:13], s[4:5], 0x10
	v_ashrrev_i32_e32 v1, 31, v0
	v_lshlrev_b64 v[0:1], 2, v[0:1]
	s_load_dwordx8 s[0:7], s[4:5], 0x20
	s_waitcnt lgkmcnt(0)
	v_mov_b32_e32 v3, s9
	v_add_co_u32_e32 v2, vcc, s8, v0
	v_addc_co_u32_e32 v3, vcc, v3, v1, vcc
	global_load_dword v2, v[2:3], off
	v_mov_b32_e32 v5, s3
	v_mov_b32_e32 v6, 1
	;; [unrolled: 1-line block ×4, first 2 shown]
	s_waitcnt vmcnt(0)
	v_ashrrev_i32_e32 v3, 31, v2
	v_lshlrev_b64 v[2:3], 2, v[2:3]
	v_add_co_u32_e32 v4, vcc, s2, v2
	v_addc_co_u32_e32 v5, vcc, v5, v3, vcc
	v_add_co_u32_e32 v2, vcc, s0, v2
	v_addc_co_u32_e32 v3, vcc, v7, v3, vcc
	global_atomic_add v4, v[4:5], v6, off glc
	v_mov_b32_e32 v6, s13
	global_load_dword v5, v[2:3], off
	v_mov_b32_e32 v3, s11
	v_add_co_u32_e32 v2, vcc, s10, v0
	v_addc_co_u32_e32 v3, vcc, v3, v1, vcc
	v_add_co_u32_e32 v0, vcc, s12, v0
	v_addc_co_u32_e32 v1, vcc, v6, v1, vcc
	global_load_dword v6, v[2:3], off
	global_load_dword v7, v[0:1], off
	v_mov_b32_e32 v3, s5
	s_waitcnt vmcnt(2)
	v_add_u32_e32 v0, v5, v4
	v_ashrrev_i32_e32 v1, 31, v0
	v_lshlrev_b64 v[0:1], 2, v[0:1]
	v_add_co_u32_e32 v2, vcc, s4, v0
	v_addc_co_u32_e32 v3, vcc, v3, v1, vcc
	v_add_co_u32_e32 v0, vcc, s6, v0
	v_addc_co_u32_e32 v1, vcc, v8, v1, vcc
	s_waitcnt vmcnt(1)
	global_store_dword v[2:3], v6, off
	s_waitcnt vmcnt(1)
	global_store_dword v[0:1], v7, off
.LBB13_2:
	s_endpgm
	.section	.rodata,"a",@progbits
	.p2align	6, 0x0
	.amdhsa_kernel _Z24compact_by_expert_kernelPKiS0_PKfiS0_PiS3_Pf
		.amdhsa_group_segment_fixed_size 0
		.amdhsa_private_segment_fixed_size 0
		.amdhsa_kernarg_size 320
		.amdhsa_user_sgpr_count 6
		.amdhsa_user_sgpr_private_segment_buffer 1
		.amdhsa_user_sgpr_dispatch_ptr 0
		.amdhsa_user_sgpr_queue_ptr 0
		.amdhsa_user_sgpr_kernarg_segment_ptr 1
		.amdhsa_user_sgpr_dispatch_id 0
		.amdhsa_user_sgpr_flat_scratch_init 0
		.amdhsa_user_sgpr_kernarg_preload_length 0
		.amdhsa_user_sgpr_kernarg_preload_offset 0
		.amdhsa_user_sgpr_private_segment_size 0
		.amdhsa_uses_dynamic_stack 0
		.amdhsa_system_sgpr_private_segment_wavefront_offset 0
		.amdhsa_system_sgpr_workgroup_id_x 1
		.amdhsa_system_sgpr_workgroup_id_y 0
		.amdhsa_system_sgpr_workgroup_id_z 0
		.amdhsa_system_sgpr_workgroup_info 0
		.amdhsa_system_vgpr_workitem_id 0
		.amdhsa_next_free_vgpr 9
		.amdhsa_next_free_sgpr 14
		.amdhsa_accum_offset 12
		.amdhsa_reserve_vcc 1
		.amdhsa_reserve_flat_scratch 0
		.amdhsa_float_round_mode_32 0
		.amdhsa_float_round_mode_16_64 0
		.amdhsa_float_denorm_mode_32 3
		.amdhsa_float_denorm_mode_16_64 3
		.amdhsa_dx10_clamp 1
		.amdhsa_ieee_mode 1
		.amdhsa_fp16_overflow 0
		.amdhsa_tg_split 0
		.amdhsa_exception_fp_ieee_invalid_op 0
		.amdhsa_exception_fp_denorm_src 0
		.amdhsa_exception_fp_ieee_div_zero 0
		.amdhsa_exception_fp_ieee_overflow 0
		.amdhsa_exception_fp_ieee_underflow 0
		.amdhsa_exception_fp_ieee_inexact 0
		.amdhsa_exception_int_div_zero 0
	.end_amdhsa_kernel
	.text
.Lfunc_end13:
	.size	_Z24compact_by_expert_kernelPKiS0_PKfiS0_PiS3_Pf, .Lfunc_end13-_Z24compact_by_expert_kernelPKiS0_PKfiS0_PiS3_Pf
                                        ; -- End function
	.section	.AMDGPU.csdata,"",@progbits
; Kernel info:
; codeLenInByte = 280
; NumSgprs: 18
; NumVgprs: 9
; NumAgprs: 0
; TotalNumVgprs: 9
; ScratchSize: 0
; MemoryBound: 0
; FloatMode: 240
; IeeeMode: 1
; LDSByteSize: 0 bytes/workgroup (compile time only)
; SGPRBlocks: 2
; VGPRBlocks: 1
; NumSGPRsForWavesPerEU: 18
; NumVGPRsForWavesPerEU: 9
; AccumOffset: 12
; Occupancy: 8
; WaveLimiterHint : 1
; COMPUTE_PGM_RSRC2:SCRATCH_EN: 0
; COMPUTE_PGM_RSRC2:USER_SGPR: 6
; COMPUTE_PGM_RSRC2:TRAP_HANDLER: 0
; COMPUTE_PGM_RSRC2:TGID_X_EN: 1
; COMPUTE_PGM_RSRC2:TGID_Y_EN: 0
; COMPUTE_PGM_RSRC2:TGID_Z_EN: 0
; COMPUTE_PGM_RSRC2:TIDIG_COMP_CNT: 0
; COMPUTE_PGM_RSRC3_GFX90A:ACCUM_OFFSET: 2
; COMPUTE_PGM_RSRC3_GFX90A:TG_SPLIT: 0
	.text
	.protected	_Z23gather_rows_vec4_kernelPKfPKiPfii ; -- Begin function _Z23gather_rows_vec4_kernelPKfPKiPfii
	.globl	_Z23gather_rows_vec4_kernelPKfPKiPfii
	.p2align	8
	.type	_Z23gather_rows_vec4_kernelPKfPKiPfii,@function
_Z23gather_rows_vec4_kernelPKfPKiPfii:  ; @_Z23gather_rows_vec4_kernelPKfPKiPfii
; %bb.0:
	s_load_dword s1, s[4:5], 0x2c
	s_load_dwordx2 s[2:3], s[4:5], 0x18
	s_mov_b32 s0, s7
	s_waitcnt lgkmcnt(0)
	s_and_b32 s1, s1, 0xffff
	s_mul_i32 s6, s6, s1
	v_add_u32_e32 v0, s6, v0
	s_cmp_lt_i32 s7, s2
	s_cselect_b64 s[6:7], -1, 0
	v_cmp_gt_i32_e32 vcc, s3, v0
	s_and_b64 s[6:7], s[6:7], vcc
	s_and_saveexec_b64 s[8:9], s[6:7]
	s_cbranch_execz .LBB14_2
; %bb.1:
	s_load_dwordx4 s[8:11], s[4:5], 0x0
	s_load_dwordx2 s[6:7], s[4:5], 0x10
	s_ashr_i32 s1, s0, 31
	s_lshl_b64 s[4:5], s[0:1], 2
	s_mul_i32 s0, s0, s3
	s_waitcnt lgkmcnt(0)
	s_add_u32 s4, s10, s4
	s_addc_u32 s5, s11, s5
	s_load_dword s1, s[4:5], 0x0
	v_mov_b32_e32 v1, s9
	v_mov_b32_e32 v6, s7
	s_waitcnt lgkmcnt(0)
	s_mul_i32 s1, s1, s3
	v_add_u32_e32 v2, s1, v0
	v_ashrrev_i32_e32 v3, 31, v2
	v_lshlrev_b64 v[2:3], 4, v[2:3]
	v_add_co_u32_e32 v2, vcc, s8, v2
	v_addc_co_u32_e32 v3, vcc, v1, v3, vcc
	global_load_dwordx4 v[2:5], v[2:3], off
	v_add_u32_e32 v0, s0, v0
	v_ashrrev_i32_e32 v1, 31, v0
	v_lshlrev_b64 v[0:1], 4, v[0:1]
	v_add_co_u32_e32 v0, vcc, s6, v0
	v_addc_co_u32_e32 v1, vcc, v6, v1, vcc
	s_waitcnt vmcnt(0)
	global_store_dwordx4 v[0:1], v[2:5], off
.LBB14_2:
	s_endpgm
	.section	.rodata,"a",@progbits
	.p2align	6, 0x0
	.amdhsa_kernel _Z23gather_rows_vec4_kernelPKfPKiPfii
		.amdhsa_group_segment_fixed_size 0
		.amdhsa_private_segment_fixed_size 0
		.amdhsa_kernarg_size 288
		.amdhsa_user_sgpr_count 6
		.amdhsa_user_sgpr_private_segment_buffer 1
		.amdhsa_user_sgpr_dispatch_ptr 0
		.amdhsa_user_sgpr_queue_ptr 0
		.amdhsa_user_sgpr_kernarg_segment_ptr 1
		.amdhsa_user_sgpr_dispatch_id 0
		.amdhsa_user_sgpr_flat_scratch_init 0
		.amdhsa_user_sgpr_kernarg_preload_length 0
		.amdhsa_user_sgpr_kernarg_preload_offset 0
		.amdhsa_user_sgpr_private_segment_size 0
		.amdhsa_uses_dynamic_stack 0
		.amdhsa_system_sgpr_private_segment_wavefront_offset 0
		.amdhsa_system_sgpr_workgroup_id_x 1
		.amdhsa_system_sgpr_workgroup_id_y 1
		.amdhsa_system_sgpr_workgroup_id_z 0
		.amdhsa_system_sgpr_workgroup_info 0
		.amdhsa_system_vgpr_workitem_id 0
		.amdhsa_next_free_vgpr 7
		.amdhsa_next_free_sgpr 12
		.amdhsa_accum_offset 8
		.amdhsa_reserve_vcc 1
		.amdhsa_reserve_flat_scratch 0
		.amdhsa_float_round_mode_32 0
		.amdhsa_float_round_mode_16_64 0
		.amdhsa_float_denorm_mode_32 3
		.amdhsa_float_denorm_mode_16_64 3
		.amdhsa_dx10_clamp 1
		.amdhsa_ieee_mode 1
		.amdhsa_fp16_overflow 0
		.amdhsa_tg_split 0
		.amdhsa_exception_fp_ieee_invalid_op 0
		.amdhsa_exception_fp_denorm_src 0
		.amdhsa_exception_fp_ieee_div_zero 0
		.amdhsa_exception_fp_ieee_overflow 0
		.amdhsa_exception_fp_ieee_underflow 0
		.amdhsa_exception_fp_ieee_inexact 0
		.amdhsa_exception_int_div_zero 0
	.end_amdhsa_kernel
	.text
.Lfunc_end14:
	.size	_Z23gather_rows_vec4_kernelPKfPKiPfii, .Lfunc_end14-_Z23gather_rows_vec4_kernelPKfPKiPfii
                                        ; -- End function
	.section	.AMDGPU.csdata,"",@progbits
; Kernel info:
; codeLenInByte = 200
; NumSgprs: 16
; NumVgprs: 7
; NumAgprs: 0
; TotalNumVgprs: 7
; ScratchSize: 0
; MemoryBound: 0
; FloatMode: 240
; IeeeMode: 1
; LDSByteSize: 0 bytes/workgroup (compile time only)
; SGPRBlocks: 1
; VGPRBlocks: 0
; NumSGPRsForWavesPerEU: 16
; NumVGPRsForWavesPerEU: 7
; AccumOffset: 8
; Occupancy: 8
; WaveLimiterHint : 0
; COMPUTE_PGM_RSRC2:SCRATCH_EN: 0
; COMPUTE_PGM_RSRC2:USER_SGPR: 6
; COMPUTE_PGM_RSRC2:TRAP_HANDLER: 0
; COMPUTE_PGM_RSRC2:TGID_X_EN: 1
; COMPUTE_PGM_RSRC2:TGID_Y_EN: 1
; COMPUTE_PGM_RSRC2:TGID_Z_EN: 0
; COMPUTE_PGM_RSRC2:TIDIG_COMP_CNT: 0
; COMPUTE_PGM_RSRC3_GFX90A:ACCUM_OFFSET: 1
; COMPUTE_PGM_RSRC3_GFX90A:TG_SPLIT: 0
	.text
	.protected	_Z18gather_rows_kernelPKfPKiPfii ; -- Begin function _Z18gather_rows_kernelPKfPKiPfii
	.globl	_Z18gather_rows_kernelPKfPKiPfii
	.p2align	8
	.type	_Z18gather_rows_kernelPKfPKiPfii,@function
_Z18gather_rows_kernelPKfPKiPfii:       ; @_Z18gather_rows_kernelPKfPKiPfii
; %bb.0:
	s_load_dword s1, s[4:5], 0x2c
	s_load_dwordx2 s[2:3], s[4:5], 0x18
	s_mov_b32 s0, s7
	s_waitcnt lgkmcnt(0)
	s_and_b32 s1, s1, 0xffff
	s_mul_i32 s6, s6, s1
	v_add_u32_e32 v0, s6, v0
	s_cmp_lt_i32 s7, s2
	s_cselect_b64 s[6:7], -1, 0
	v_cmp_gt_i32_e32 vcc, s3, v0
	s_and_b64 s[6:7], s[6:7], vcc
	s_and_saveexec_b64 s[8:9], s[6:7]
	s_cbranch_execz .LBB15_2
; %bb.1:
	s_load_dwordx4 s[8:11], s[4:5], 0x0
	s_load_dwordx2 s[6:7], s[4:5], 0x10
	s_ashr_i32 s1, s0, 31
	s_lshl_b64 s[4:5], s[0:1], 2
	s_mul_i32 s0, s0, s3
	s_waitcnt lgkmcnt(0)
	s_add_u32 s4, s10, s4
	s_addc_u32 s5, s11, s5
	s_load_dword s1, s[4:5], 0x0
	v_mov_b32_e32 v1, s9
	s_waitcnt lgkmcnt(0)
	s_mul_i32 s1, s1, s3
	v_add_u32_e32 v2, s1, v0
	v_ashrrev_i32_e32 v3, 31, v2
	v_lshlrev_b64 v[2:3], 2, v[2:3]
	v_add_co_u32_e32 v2, vcc, s8, v2
	v_addc_co_u32_e32 v3, vcc, v1, v3, vcc
	global_load_dword v2, v[2:3], off
	v_add_u32_e32 v0, s0, v0
	v_ashrrev_i32_e32 v1, 31, v0
	v_lshlrev_b64 v[0:1], 2, v[0:1]
	v_mov_b32_e32 v3, s7
	v_add_co_u32_e32 v0, vcc, s6, v0
	v_addc_co_u32_e32 v1, vcc, v3, v1, vcc
	s_waitcnt vmcnt(0)
	global_store_dword v[0:1], v2, off
.LBB15_2:
	s_endpgm
	.section	.rodata,"a",@progbits
	.p2align	6, 0x0
	.amdhsa_kernel _Z18gather_rows_kernelPKfPKiPfii
		.amdhsa_group_segment_fixed_size 0
		.amdhsa_private_segment_fixed_size 0
		.amdhsa_kernarg_size 288
		.amdhsa_user_sgpr_count 6
		.amdhsa_user_sgpr_private_segment_buffer 1
		.amdhsa_user_sgpr_dispatch_ptr 0
		.amdhsa_user_sgpr_queue_ptr 0
		.amdhsa_user_sgpr_kernarg_segment_ptr 1
		.amdhsa_user_sgpr_dispatch_id 0
		.amdhsa_user_sgpr_flat_scratch_init 0
		.amdhsa_user_sgpr_kernarg_preload_length 0
		.amdhsa_user_sgpr_kernarg_preload_offset 0
		.amdhsa_user_sgpr_private_segment_size 0
		.amdhsa_uses_dynamic_stack 0
		.amdhsa_system_sgpr_private_segment_wavefront_offset 0
		.amdhsa_system_sgpr_workgroup_id_x 1
		.amdhsa_system_sgpr_workgroup_id_y 1
		.amdhsa_system_sgpr_workgroup_id_z 0
		.amdhsa_system_sgpr_workgroup_info 0
		.amdhsa_system_vgpr_workitem_id 0
		.amdhsa_next_free_vgpr 4
		.amdhsa_next_free_sgpr 12
		.amdhsa_accum_offset 4
		.amdhsa_reserve_vcc 1
		.amdhsa_reserve_flat_scratch 0
		.amdhsa_float_round_mode_32 0
		.amdhsa_float_round_mode_16_64 0
		.amdhsa_float_denorm_mode_32 3
		.amdhsa_float_denorm_mode_16_64 3
		.amdhsa_dx10_clamp 1
		.amdhsa_ieee_mode 1
		.amdhsa_fp16_overflow 0
		.amdhsa_tg_split 0
		.amdhsa_exception_fp_ieee_invalid_op 0
		.amdhsa_exception_fp_denorm_src 0
		.amdhsa_exception_fp_ieee_div_zero 0
		.amdhsa_exception_fp_ieee_overflow 0
		.amdhsa_exception_fp_ieee_underflow 0
		.amdhsa_exception_fp_ieee_inexact 0
		.amdhsa_exception_int_div_zero 0
	.end_amdhsa_kernel
	.text
.Lfunc_end15:
	.size	_Z18gather_rows_kernelPKfPKiPfii, .Lfunc_end15-_Z18gather_rows_kernelPKfPKiPfii
                                        ; -- End function
	.section	.AMDGPU.csdata,"",@progbits
; Kernel info:
; codeLenInByte = 200
; NumSgprs: 16
; NumVgprs: 4
; NumAgprs: 0
; TotalNumVgprs: 4
; ScratchSize: 0
; MemoryBound: 0
; FloatMode: 240
; IeeeMode: 1
; LDSByteSize: 0 bytes/workgroup (compile time only)
; SGPRBlocks: 1
; VGPRBlocks: 0
; NumSGPRsForWavesPerEU: 16
; NumVGPRsForWavesPerEU: 4
; AccumOffset: 4
; Occupancy: 8
; WaveLimiterHint : 1
; COMPUTE_PGM_RSRC2:SCRATCH_EN: 0
; COMPUTE_PGM_RSRC2:USER_SGPR: 6
; COMPUTE_PGM_RSRC2:TRAP_HANDLER: 0
; COMPUTE_PGM_RSRC2:TGID_X_EN: 1
; COMPUTE_PGM_RSRC2:TGID_Y_EN: 1
; COMPUTE_PGM_RSRC2:TGID_Z_EN: 0
; COMPUTE_PGM_RSRC2:TIDIG_COMP_CNT: 0
; COMPUTE_PGM_RSRC3_GFX90A:ACCUM_OFFSET: 0
; COMPUTE_PGM_RSRC3_GFX90A:TG_SPLIT: 0
	.text
	.protected	_Z23build_expert_work_queuePKiPiP4Int2i ; -- Begin function _Z23build_expert_work_queuePKiPiP4Int2i
	.globl	_Z23build_expert_work_queuePKiPiP4Int2i
	.p2align	8
	.type	_Z23build_expert_work_queuePKiPiP4Int2i,@function
_Z23build_expert_work_queuePKiPiP4Int2i: ; @_Z23build_expert_work_queuePKiPiP4Int2i
; %bb.0:
	v_or_b32_e32 v0, s6, v0
	s_mov_b32 s0, 0
	v_cmp_eq_u32_e32 vcc, 0, v0
	s_and_saveexec_b64 s[2:3], vcc
	s_cbranch_execz .LBB16_8
; %bb.1:
	s_load_dword s8, s[4:5], 0x18
	s_load_dwordx2 s[6:7], s[4:5], 0x10
	s_mov_b32 s1, 0
	s_waitcnt lgkmcnt(0)
	s_cmp_lt_i32 s8, 1
	s_cbranch_scc1 .LBB16_7
; %bb.2:
	s_load_dwordx4 s[0:3], s[4:5], 0x0
	s_mov_b32 s5, 0
	v_mov_b32_e32 v0, 0
	s_mov_b32 s4, s5
	s_waitcnt lgkmcnt(0)
	s_load_dword s12, s[0:1], 0x0
	s_add_u32 s9, s0, 4
	s_addc_u32 s10, s1, 0
	s_mov_b32 s1, 0
	s_mov_b32 s0, 0
.LBB16_3:                               ; =>This Inner Loop Header: Depth=1
	s_lshl_b64 s[14:15], s[4:5], 2
	s_add_u32 s14, s9, s14
	s_addc_u32 s15, s10, s15
	s_load_dword s11, s[14:15], 0x0
	s_waitcnt lgkmcnt(0)
	s_sub_i32 s13, s11, s12
	s_cmp_lt_i32 s13, 1
	s_cbranch_scc1 .LBB16_5
; %bb.4:                                ;   in Loop: Header=BB16_3 Depth=1
	s_mul_i32 s14, s1, 3
	s_ashr_i32 s15, s14, 31
	s_lshl_b64 s[14:15], s[14:15], 2
	s_add_u32 s14, s2, s14
	s_addc_u32 s15, s3, s15
	v_mov_b32_e32 v2, s4
	v_mov_b32_e32 v3, s12
	;; [unrolled: 1-line block ×3, first 2 shown]
	s_add_i32 s1, s1, 1
	s_max_i32 s0, s13, s0
	global_store_dwordx3 v0, v[2:4], s[14:15]
.LBB16_5:                               ;   in Loop: Header=BB16_3 Depth=1
	s_add_i32 s4, s4, 1
	s_cmp_eq_u32 s4, s8
	s_cbranch_scc1 .LBB16_7
; %bb.6:                                ;   in Loop: Header=BB16_3 Depth=1
	s_mov_b32 s12, s11
	s_branch .LBB16_3
.LBB16_7:
	v_mov_b32_e32 v0, s1
	v_mov_b32_e32 v1, s0
	;; [unrolled: 1-line block ×3, first 2 shown]
	global_store_dwordx2 v2, v[0:1], s[6:7]
.LBB16_8:
	s_endpgm
	.section	.rodata,"a",@progbits
	.p2align	6, 0x0
	.amdhsa_kernel _Z23build_expert_work_queuePKiPiP4Int2i
		.amdhsa_group_segment_fixed_size 0
		.amdhsa_private_segment_fixed_size 0
		.amdhsa_kernarg_size 28
		.amdhsa_user_sgpr_count 6
		.amdhsa_user_sgpr_private_segment_buffer 1
		.amdhsa_user_sgpr_dispatch_ptr 0
		.amdhsa_user_sgpr_queue_ptr 0
		.amdhsa_user_sgpr_kernarg_segment_ptr 1
		.amdhsa_user_sgpr_dispatch_id 0
		.amdhsa_user_sgpr_flat_scratch_init 0
		.amdhsa_user_sgpr_kernarg_preload_length 0
		.amdhsa_user_sgpr_kernarg_preload_offset 0
		.amdhsa_user_sgpr_private_segment_size 0
		.amdhsa_uses_dynamic_stack 0
		.amdhsa_system_sgpr_private_segment_wavefront_offset 0
		.amdhsa_system_sgpr_workgroup_id_x 1
		.amdhsa_system_sgpr_workgroup_id_y 0
		.amdhsa_system_sgpr_workgroup_id_z 0
		.amdhsa_system_sgpr_workgroup_info 0
		.amdhsa_system_vgpr_workitem_id 0
		.amdhsa_next_free_vgpr 5
		.amdhsa_next_free_sgpr 16
		.amdhsa_accum_offset 8
		.amdhsa_reserve_vcc 1
		.amdhsa_reserve_flat_scratch 0
		.amdhsa_float_round_mode_32 0
		.amdhsa_float_round_mode_16_64 0
		.amdhsa_float_denorm_mode_32 3
		.amdhsa_float_denorm_mode_16_64 3
		.amdhsa_dx10_clamp 1
		.amdhsa_ieee_mode 1
		.amdhsa_fp16_overflow 0
		.amdhsa_tg_split 0
		.amdhsa_exception_fp_ieee_invalid_op 0
		.amdhsa_exception_fp_denorm_src 0
		.amdhsa_exception_fp_ieee_div_zero 0
		.amdhsa_exception_fp_ieee_overflow 0
		.amdhsa_exception_fp_ieee_underflow 0
		.amdhsa_exception_fp_ieee_inexact 0
		.amdhsa_exception_int_div_zero 0
	.end_amdhsa_kernel
	.text
.Lfunc_end16:
	.size	_Z23build_expert_work_queuePKiPiP4Int2i, .Lfunc_end16-_Z23build_expert_work_queuePKiPiP4Int2i
                                        ; -- End function
	.section	.AMDGPU.csdata,"",@progbits
; Kernel info:
; codeLenInByte = 228
; NumSgprs: 20
; NumVgprs: 5
; NumAgprs: 0
; TotalNumVgprs: 5
; ScratchSize: 0
; MemoryBound: 0
; FloatMode: 240
; IeeeMode: 1
; LDSByteSize: 0 bytes/workgroup (compile time only)
; SGPRBlocks: 2
; VGPRBlocks: 0
; NumSGPRsForWavesPerEU: 20
; NumVGPRsForWavesPerEU: 5
; AccumOffset: 8
; Occupancy: 8
; WaveLimiterHint : 0
; COMPUTE_PGM_RSRC2:SCRATCH_EN: 0
; COMPUTE_PGM_RSRC2:USER_SGPR: 6
; COMPUTE_PGM_RSRC2:TRAP_HANDLER: 0
; COMPUTE_PGM_RSRC2:TGID_X_EN: 1
; COMPUTE_PGM_RSRC2:TGID_Y_EN: 0
; COMPUTE_PGM_RSRC2:TGID_Z_EN: 0
; COMPUTE_PGM_RSRC2:TIDIG_COMP_CNT: 0
; COMPUTE_PGM_RSRC3_GFX90A:ACCUM_OFFSET: 1
; COMPUTE_PGM_RSRC3_GFX90A:TG_SPLIT: 0
	.text
	.protected	_Z25classify_and_build_queuesPKiiiffPiS1_P8MoEStats ; -- Begin function _Z25classify_and_build_queuesPKiiiffPiS1_P8MoEStats
	.globl	_Z25classify_and_build_queuesPKiiiffPiS1_P8MoEStats
	.p2align	8
	.type	_Z25classify_and_build_queuesPKiiiffPiS1_P8MoEStats,@function
_Z25classify_and_build_queuesPKiiiffPiS1_P8MoEStats: ; @_Z25classify_and_build_queuesPKiiiffPiS1_P8MoEStats
; %bb.0:
	v_or_b32_e32 v0, s6, v0
	s_mov_b32 s18, 0
	v_cmp_eq_u32_e32 vcc, 0, v0
	s_and_saveexec_b64 s[0:1], vcc
	s_cbranch_execz .LBB17_19
; %bb.1:
	s_load_dwordx8 s[8:15], s[4:5], 0x8
	s_load_dwordx2 s[6:7], s[4:5], 0x0
	s_load_dwordx2 s[2:3], s[4:5], 0x28
	s_waitcnt lgkmcnt(0)
	s_cmp_gt_i32 s8, 0
	s_cselect_b64 s[0:1], -1, 0
	s_cmp_lt_i32 s8, 1
	s_cbranch_scc1 .LBB17_15
; %bb.2:
	s_load_dword s20, s[6:7], 0x0
	s_add_u32 s16, s6, 4
	s_addc_u32 s17, s7, 0
	s_mov_b64 s[4:5], 0
	s_mov_b32 s19, s8
.LBB17_3:                               ; =>This Inner Loop Header: Depth=1
	s_load_dword s22, s[16:17], 0x0
	s_waitcnt lgkmcnt(0)
	s_sub_i32 s23, s22, s20
	s_cmp_gt_i32 s23, 0
	s_cselect_b64 s[20:21], -1, 0
	s_max_i32 s23, s23, 0
	s_add_u32 s4, s4, s23
	s_addc_u32 s5, s5, 0
	s_cmp_lg_u64 s[20:21], 0
	s_addc_u32 s18, s18, 0
	s_add_u32 s16, s16, 4
	s_addc_u32 s17, s17, 0
	s_add_i32 s19, s19, -1
	s_cmp_eq_u32 s19, 0
	s_mov_b32 s20, s22
	s_cbranch_scc0 .LBB17_3
; %bb.4:
	s_cmp_lg_u32 s18, 0
	s_mov_b32 s17, 0
	s_cbranch_scc0 .LBB17_16
.LBB17_5:
	s_andn2_b64 vcc, exec, s[0:1]
	s_cbranch_vccnz .LBB17_17
; %bb.6:
	s_xor_b32 s1, s4, s5
	s_flbit_i32 s0, s5
	s_ashr_i32 s1, s1, 31
	s_add_i32 s0, s0, -1
	s_add_i32 s1, s1, 32
	s_min_u32 s16, s0, s1
	s_lshl_b64 s[0:1], s[4:5], s16
	s_min_u32 s0, s0, 1
	s_or_b32 s0, s1, s0
	v_cvt_f32_i32_e32 v0, s0
	v_cvt_f32_i32_e32 v1, s18
	s_sub_i32 s0, 32, s16
	s_cmp_gt_i32 s18, s9
	v_ldexp_f32 v0, v0, s0
	v_div_scale_f32 v2, s[0:1], v1, v1, v0
	v_rcp_f32_e32 v3, v2
	s_cselect_b64 s[0:1], -1, 0
	s_cmp_lt_i32 s18, 13
	s_load_dword s23, s[6:7], 0x0
	v_fma_f32 v4, -v2, v3, 1.0
	v_fmac_f32_e32 v3, v4, v3
	v_div_scale_f32 v4, vcc, v0, v1, v0
	v_mul_f32_e32 v5, v4, v3
	v_fma_f32 v6, -v2, v5, v4
	v_fmac_f32_e32 v5, v6, v3
	v_fma_f32 v2, -v2, v5, v4
	v_div_fmas_f32 v2, v2, v3, v5
	v_div_fixup_f32 v0, v2, v1, v0
	v_mov_b32_e32 v1, s11
	v_mov_b32_e32 v2, s10
	s_cselect_b64 vcc, -1, 0
	v_cndmask_b32_e32 v1, v1, v2, vcc
	v_cndmask_b32_e64 v1, 1.0, v1, s[0:1]
	v_mul_f32_e32 v0, v0, v1
	v_ceil_f32_e32 v0, v0
	v_cvt_i32_f32_e32 v0, v0
	s_add_u32 s20, s6, 4
	s_addc_u32 s21, s7, 0
	s_mov_b32 s7, 0
	v_readfirstlane_b32 s19, v0
	v_mov_b32_e32 v0, 0
	s_mov_b32 s16, 0
	s_mov_b32 s9, 0
	;; [unrolled: 1-line block ×3, first 2 shown]
.LBB17_7:                               ; =>This Inner Loop Header: Depth=1
	s_lshl_b64 s[10:11], s[6:7], 2
	s_add_u32 s10, s20, s10
	s_addc_u32 s11, s21, s11
	s_load_dword s22, s[10:11], 0x0
	s_waitcnt lgkmcnt(0)
	s_sub_i32 s24, s22, s23
	s_cmp_lt_i32 s24, 1
	s_cbranch_scc1 .LBB17_13
; %bb.8:                                ;   in Loop: Header=BB17_7 Depth=1
	s_cmp_lt_i32 s24, s19
	s_cselect_b64 s[10:11], -1, 0
	s_and_b64 s[26:27], s[0:1], s[10:11]
	s_mov_b64 s[10:11], -1
	s_and_b64 vcc, exec, s[26:27]
                                        ; implicit-def: $sgpr25
                                        ; implicit-def: $sgpr26
	s_cbranch_vccnz .LBB17_10
; %bb.9:                                ;   in Loop: Header=BB17_7 Depth=1
	s_mul_i32 s10, s17, 3
	s_ashr_i32 s11, s10, 31
	s_lshl_b64 s[10:11], s[10:11], 2
	s_add_u32 s10, s12, s10
	s_addc_u32 s11, s13, s11
	v_mov_b32_e32 v2, s6
	v_mov_b32_e32 v3, s23
	;; [unrolled: 1-line block ×3, first 2 shown]
	global_store_dwordx3 v0, v[2:4], s[10:11]
	s_add_i32 s25, s17, 1
	s_max_i32 s26, s24, s16
	s_mov_b64 s[10:11], 0
.LBB17_10:                              ;   in Loop: Header=BB17_7 Depth=1
	s_andn2_b64 vcc, exec, s[10:11]
	s_cbranch_vccnz .LBB17_12
; %bb.11:                               ;   in Loop: Header=BB17_7 Depth=1
	s_mul_i32 s10, s9, 3
	s_ashr_i32 s11, s10, 31
	s_lshl_b64 s[10:11], s[10:11], 2
	s_add_u32 s10, s14, s10
	s_addc_u32 s11, s15, s11
	v_mov_b32_e32 v2, s6
	v_mov_b32_e32 v3, s23
	;; [unrolled: 1-line block ×3, first 2 shown]
	s_add_i32 s9, s9, 1
	s_mov_b32 s25, s17
	s_mov_b32 s26, s16
	global_store_dwordx3 v0, v[2:4], s[10:11]
.LBB17_12:                              ;   in Loop: Header=BB17_7 Depth=1
	s_mov_b32 s16, s26
	s_mov_b32 s17, s25
.LBB17_13:                              ;   in Loop: Header=BB17_7 Depth=1
	s_add_i32 s6, s6, 1
	s_cmp_lg_u32 s6, s8
	s_cbranch_scc0 .LBB17_18
; %bb.14:                               ;   in Loop: Header=BB17_7 Depth=1
	s_mov_b32 s23, s22
	s_branch .LBB17_7
.LBB17_15:
	s_mov_b64 s[4:5], 0
	s_cmp_lg_u32 s18, 0
	s_mov_b32 s17, 0
	s_cbranch_scc1 .LBB17_5
.LBB17_16:
	s_mov_b64 s[4:5], 0
	s_mov_b32 s9, 0
	s_mov_b32 s16, 0
	s_mov_b32 s18, 0
	s_branch .LBB17_18
.LBB17_17:
	s_mov_b32 s16, 0
	s_mov_b32 s9, 0
.LBB17_18:
	v_mov_b32_e32 v0, s17
	v_mov_b32_e32 v1, s9
	;; [unrolled: 1-line block ×5, first 2 shown]
	global_store_dwordx4 v4, v[0:3], s[2:3]
	s_nop 0
	v_pk_mov_b32 v[0:1], s[4:5], s[4:5] op_sel:[0,1]
	global_store_dwordx2 v4, v[0:1], s[2:3] offset:16
.LBB17_19:
	s_endpgm
	.section	.rodata,"a",@progbits
	.p2align	6, 0x0
	.amdhsa_kernel _Z25classify_and_build_queuesPKiiiffPiS1_P8MoEStats
		.amdhsa_group_segment_fixed_size 0
		.amdhsa_private_segment_fixed_size 0
		.amdhsa_kernarg_size 48
		.amdhsa_user_sgpr_count 6
		.amdhsa_user_sgpr_private_segment_buffer 1
		.amdhsa_user_sgpr_dispatch_ptr 0
		.amdhsa_user_sgpr_queue_ptr 0
		.amdhsa_user_sgpr_kernarg_segment_ptr 1
		.amdhsa_user_sgpr_dispatch_id 0
		.amdhsa_user_sgpr_flat_scratch_init 0
		.amdhsa_user_sgpr_kernarg_preload_length 0
		.amdhsa_user_sgpr_kernarg_preload_offset 0
		.amdhsa_user_sgpr_private_segment_size 0
		.amdhsa_uses_dynamic_stack 0
		.amdhsa_system_sgpr_private_segment_wavefront_offset 0
		.amdhsa_system_sgpr_workgroup_id_x 1
		.amdhsa_system_sgpr_workgroup_id_y 0
		.amdhsa_system_sgpr_workgroup_id_z 0
		.amdhsa_system_sgpr_workgroup_info 0
		.amdhsa_system_vgpr_workitem_id 0
		.amdhsa_next_free_vgpr 7
		.amdhsa_next_free_sgpr 28
		.amdhsa_accum_offset 8
		.amdhsa_reserve_vcc 1
		.amdhsa_reserve_flat_scratch 0
		.amdhsa_float_round_mode_32 0
		.amdhsa_float_round_mode_16_64 0
		.amdhsa_float_denorm_mode_32 3
		.amdhsa_float_denorm_mode_16_64 3
		.amdhsa_dx10_clamp 1
		.amdhsa_ieee_mode 1
		.amdhsa_fp16_overflow 0
		.amdhsa_tg_split 0
		.amdhsa_exception_fp_ieee_invalid_op 0
		.amdhsa_exception_fp_denorm_src 0
		.amdhsa_exception_fp_ieee_div_zero 0
		.amdhsa_exception_fp_ieee_overflow 0
		.amdhsa_exception_fp_ieee_underflow 0
		.amdhsa_exception_fp_ieee_inexact 0
		.amdhsa_exception_int_div_zero 0
	.end_amdhsa_kernel
	.text
.Lfunc_end17:
	.size	_Z25classify_and_build_queuesPKiiiffPiS1_P8MoEStats, .Lfunc_end17-_Z25classify_and_build_queuesPKiiiffPiS1_P8MoEStats
                                        ; -- End function
	.section	.AMDGPU.csdata,"",@progbits
; Kernel info:
; codeLenInByte = 688
; NumSgprs: 32
; NumVgprs: 7
; NumAgprs: 0
; TotalNumVgprs: 7
; ScratchSize: 0
; MemoryBound: 0
; FloatMode: 240
; IeeeMode: 1
; LDSByteSize: 0 bytes/workgroup (compile time only)
; SGPRBlocks: 3
; VGPRBlocks: 0
; NumSGPRsForWavesPerEU: 32
; NumVGPRsForWavesPerEU: 7
; AccumOffset: 8
; Occupancy: 8
; WaveLimiterHint : 0
; COMPUTE_PGM_RSRC2:SCRATCH_EN: 0
; COMPUTE_PGM_RSRC2:USER_SGPR: 6
; COMPUTE_PGM_RSRC2:TRAP_HANDLER: 0
; COMPUTE_PGM_RSRC2:TGID_X_EN: 1
; COMPUTE_PGM_RSRC2:TGID_Y_EN: 0
; COMPUTE_PGM_RSRC2:TGID_Z_EN: 0
; COMPUTE_PGM_RSRC2:TIDIG_COMP_CNT: 0
; COMPUTE_PGM_RSRC3_GFX90A:ACCUM_OFFSET: 1
; COMPUTE_PGM_RSRC3_GFX90A:TG_SPLIT: 0
	.text
	.protected	_Z14softmax_kernelPfii  ; -- Begin function _Z14softmax_kernelPfii
	.globl	_Z14softmax_kernelPfii
	.p2align	8
	.type	_Z14softmax_kernelPfii,@function
_Z14softmax_kernelPfii:                 ; @_Z14softmax_kernelPfii
; %bb.0:
	s_load_dwordx2 s[10:11], s[4:5], 0x8
	s_waitcnt lgkmcnt(0)
	s_cmp_ge_i32 s6, s10
	s_cbranch_scc1 .LBB18_41
; %bb.1:
	s_load_dword s0, s[4:5], 0x1c
	s_load_dwordx2 s[12:13], s[4:5], 0x0
	s_mul_i32 s14, s6, s11
	v_cmp_gt_i32_e32 vcc, s11, v0
	s_ashr_i32 s15, s14, 31
	s_waitcnt lgkmcnt(0)
	s_and_b32 s10, s0, 0xffff
	v_mov_b32_e32 v11, 0xff7ff023
	v_lshlrev_b32_e32 v6, 2, v0
	s_and_saveexec_b64 s[2:3], vcc
	s_cbranch_execz .LBB18_5
; %bb.2:
	s_lshl_b64 s[0:1], s[14:15], 2
	s_add_u32 s0, s12, s0
	s_addc_u32 s1, s13, s1
	s_mov_b32 s7, 0
	v_mov_b32_e32 v1, s1
	v_add_co_u32_e64 v2, s[0:1], s0, v6
	v_addc_co_u32_e64 v3, s[0:1], 0, v1, s[0:1]
	s_lshl_b32 s6, s10, 2
	s_mov_b64 s[4:5], 0
	v_mov_b32_e32 v11, 0xff7ff023
	v_mov_b32_e32 v1, s7
	;; [unrolled: 1-line block ×3, first 2 shown]
.LBB18_3:                               ; =>This Inner Loop Header: Depth=1
	global_load_dword v5, v[2:3], off
	v_add_co_u32_e64 v2, s[0:1], s6, v2
	v_add_u32_e32 v4, s10, v4
	v_addc_co_u32_e64 v3, s[0:1], v3, v1, s[0:1]
	v_cmp_le_i32_e64 s[0:1], s11, v4
	s_or_b64 s[4:5], s[0:1], s[4:5]
	s_waitcnt vmcnt(0)
	v_cmp_lt_f32_e64 s[0:1], v11, v5
	v_cndmask_b32_e64 v11, v11, v5, s[0:1]
	s_andn2_b64 exec, exec, s[4:5]
	s_cbranch_execnz .LBB18_3
; %bb.4:
	s_or_b64 exec, exec, s[4:5]
.LBB18_5:
	s_or_b64 exec, exec, s[2:3]
	v_mbcnt_lo_u32_b32 v1, -1, 0
	v_mbcnt_hi_u32_b32 v2, -1, v1
	v_and_b32_e32 v1, 64, v2
	v_add_u32_e32 v3, 64, v1
	v_xor_b32_e32 v1, 32, v2
	v_cmp_lt_i32_e64 s[0:1], v1, v3
	v_cndmask_b32_e64 v1, v2, v1, s[0:1]
	v_lshlrev_b32_e32 v1, 2, v1
	ds_bpermute_b32 v4, v1, v11
	s_waitcnt lgkmcnt(0)
	v_cmp_ngt_f32_e64 s[0:1], v11, v4
	s_and_saveexec_b64 s[2:3], s[0:1]
	s_cbranch_execz .LBB18_7
; %bb.6:
	ds_bpermute_b32 v11, v1, v11
.LBB18_7:
	s_or_b64 exec, exec, s[2:3]
	v_xor_b32_e32 v4, 16, v2
	v_cmp_lt_i32_e64 s[0:1], v4, v3
	v_cndmask_b32_e64 v4, v2, v4, s[0:1]
	v_lshlrev_b32_e32 v4, 2, v4
	s_waitcnt lgkmcnt(0)
	ds_bpermute_b32 v5, v4, v11
	s_waitcnt lgkmcnt(0)
	v_cmp_ngt_f32_e64 s[0:1], v11, v5
	s_and_saveexec_b64 s[2:3], s[0:1]
	s_cbranch_execz .LBB18_9
; %bb.8:
	ds_bpermute_b32 v11, v4, v11
.LBB18_9:
	s_or_b64 exec, exec, s[2:3]
	v_xor_b32_e32 v5, 8, v2
	v_cmp_lt_i32_e64 s[0:1], v5, v3
	v_cndmask_b32_e64 v5, v2, v5, s[0:1]
	v_lshlrev_b32_e32 v5, 2, v5
	s_waitcnt lgkmcnt(0)
	;; [unrolled: 14-line block ×5, first 2 shown]
	ds_bpermute_b32 v2, v9, v11
	s_waitcnt lgkmcnt(0)
	v_cmp_ngt_f32_e64 s[0:1], v11, v2
	s_and_saveexec_b64 s[2:3], s[0:1]
	s_cbranch_execz .LBB18_17
; %bb.16:
	ds_bpermute_b32 v11, v9, v11
.LBB18_17:
	s_or_b64 exec, exec, s[2:3]
	v_and_b32_e32 v3, 63, v0
	v_cmp_eq_u32_e64 s[0:1], 0, v3
	v_lshrrev_b32_e32 v10, 4, v0
	s_and_saveexec_b64 s[2:3], s[0:1]
	s_cbranch_execz .LBB18_19
; %bb.18:
	s_waitcnt lgkmcnt(0)
	ds_write_b32 v10, v11
.LBB18_19:
	s_or_b64 exec, exec, s[2:3]
	s_lshr_b32 s2, s10, 6
	v_cmp_gt_u32_e64 s[2:3], s2, v0
	v_mov_b32_e32 v2, 0xff7ff023
	s_waitcnt lgkmcnt(0)
	v_lshlrev_b32_e32 v11, 2, v3
	s_barrier
	s_and_saveexec_b64 s[4:5], s[2:3]
	s_cbranch_execnz .LBB18_42
; %bb.20:
	s_or_b64 exec, exec, s[4:5]
	v_cmp_gt_u32_e64 s[4:5], 64, v0
	s_and_saveexec_b64 s[8:9], s[4:5]
	s_cbranch_execnz .LBB18_43
.LBB18_21:
	s_or_b64 exec, exec, s[8:9]
	v_cmp_eq_u32_e64 s[6:7], 0, v0
	s_and_saveexec_b64 s[8:9], s[6:7]
	s_cbranch_execz .LBB18_23
.LBB18_22:
	v_mov_b32_e32 v3, 0
	s_waitcnt lgkmcnt(0)
	ds_write_b32 v3, v2 offset:132
.LBB18_23:
	s_or_b64 exec, exec, s[8:9]
	v_mov_b32_e32 v12, 0
	s_waitcnt lgkmcnt(0)
	s_barrier
	s_and_saveexec_b64 s[16:17], vcc
	s_cbranch_execz .LBB18_27
; %bb.24:
	v_mov_b32_e32 v12, 0
	ds_read_b32 v13, v12 offset:132
	s_lshl_b64 s[8:9], s[14:15], 2
	s_add_u32 s8, s12, s8
	s_addc_u32 s9, s13, s9
	s_mov_b32 s24, 0
	v_mov_b32_e32 v3, s9
	v_add_co_u32_e64 v2, s[8:9], s8, v6
	v_addc_co_u32_e64 v3, s[8:9], 0, v3, s[8:9]
	s_lshl_b32 s20, s10, 2
	s_mov_b64 s[18:19], 0
	s_mov_b32 s21, 0x3fb8aa3b
	s_mov_b32 s22, 0xc2ce8ed0
	;; [unrolled: 1-line block ×3, first 2 shown]
	v_mov_b32_e32 v6, 0x7f800000
	v_mov_b32_e32 v14, s24
	;; [unrolled: 1-line block ×3, first 2 shown]
.LBB18_25:                              ; =>This Inner Loop Header: Depth=1
	global_load_dword v16, v[2:3], off
	v_add_u32_e32 v15, s10, v15
	v_cmp_le_i32_e64 s[8:9], s11, v15
	s_or_b64 s[18:19], s[8:9], s[18:19]
	s_waitcnt vmcnt(0) lgkmcnt(0)
	v_sub_f32_e32 v16, v16, v13
	v_mul_f32_e32 v17, 0x3fb8aa3b, v16
	v_fma_f32 v18, v16, s21, -v17
	v_rndne_f32_e32 v19, v17
	v_fmac_f32_e32 v18, 0x32a5705f, v16
	v_sub_f32_e32 v17, v17, v19
	v_add_f32_e32 v17, v17, v18
	v_cvt_i32_f32_e32 v19, v19
	v_exp_f32_e32 v17, v17
	v_cmp_ngt_f32_e64 s[8:9], s22, v16
	v_ldexp_f32 v17, v17, v19
	v_cndmask_b32_e64 v17, 0, v17, s[8:9]
	v_cmp_nlt_f32_e64 s[8:9], s23, v16
	v_cndmask_b32_e64 v16, v6, v17, s[8:9]
	global_store_dword v[2:3], v16, off
	v_add_co_u32_e64 v2, s[8:9], s20, v2
	v_add_f32_e32 v12, v12, v16
	v_addc_co_u32_e64 v3, s[8:9], v3, v14, s[8:9]
	s_andn2_b64 exec, exec, s[18:19]
	s_cbranch_execnz .LBB18_25
; %bb.26:
	s_or_b64 exec, exec, s[18:19]
.LBB18_27:
	s_or_b64 exec, exec, s[16:17]
	ds_bpermute_b32 v2, v1, v12
	s_waitcnt lgkmcnt(0)
	v_add_f32_e32 v2, v12, v2
	ds_bpermute_b32 v3, v4, v2
	s_waitcnt lgkmcnt(0)
	v_add_f32_e32 v2, v2, v3
	;; [unrolled: 3-line block ×5, first 2 shown]
	ds_bpermute_b32 v3, v9, v2
	s_and_saveexec_b64 s[8:9], s[0:1]
	s_cbranch_execz .LBB18_29
; %bb.28:
	s_waitcnt lgkmcnt(0)
	v_add_f32_e32 v2, v2, v3
	ds_write_b32 v10, v2 offset:64
.LBB18_29:
	s_or_b64 exec, exec, s[8:9]
	v_mov_b32_e32 v2, 0
	s_waitcnt lgkmcnt(0)
	s_barrier
	s_and_saveexec_b64 s[0:1], s[2:3]
	s_cbranch_execnz .LBB18_56
; %bb.30:
	s_or_b64 exec, exec, s[0:1]
	s_and_saveexec_b64 s[0:1], s[4:5]
	s_cbranch_execnz .LBB18_57
.LBB18_31:
	s_or_b64 exec, exec, s[0:1]
	s_and_saveexec_b64 s[0:1], s[6:7]
	s_cbranch_execz .LBB18_33
.LBB18_32:
	v_mov_b32_e32 v1, 0
	s_waitcnt lgkmcnt(0)
	ds_write_b32 v1, v2 offset:128
.LBB18_33:
	s_or_b64 exec, exec, s[0:1]
	s_waitcnt lgkmcnt(0)
	s_barrier
	s_and_saveexec_b64 s[0:1], vcc
	s_cbranch_execz .LBB18_41
; %bb.34:
	v_cvt_f32_u32_e32 v1, s10
	v_add_u32_e32 v2, s10, v0
	v_mov_b32_e32 v5, s10
	v_cmp_gt_i32_e32 vcc, s11, v2
	v_rcp_iflag_f32_e32 v1, v1
	v_max_i32_e32 v6, s11, v2
	v_addc_co_u32_e64 v2, s[0:1], v0, v5, vcc
	v_mul_f32_e32 v1, 0x4f7ffffe, v1
	v_cvt_u32_f32_e32 v1, v1
	s_sub_i32 s0, 0, s10
	v_sub_u32_e32 v2, v6, v2
	v_mov_b32_e32 v3, 0
	v_mul_lo_u32 v5, s0, v1
	v_mul_hi_u32 v5, v1, v5
	v_add_u32_e32 v1, v1, v5
	v_mul_hi_u32 v1, v2, v1
	v_mul_lo_u32 v5, v1, s10
	v_sub_u32_e32 v2, v2, v5
	v_add_u32_e32 v5, 1, v1
	v_cmp_le_u32_e64 s[0:1], s10, v2
	v_cndmask_b32_e64 v1, v1, v5, s[0:1]
	v_subrev_u32_e32 v5, s10, v2
	v_cndmask_b32_e64 v2, v2, v5, s[0:1]
	ds_read_b32 v4, v3 offset:128
	v_add_u32_e32 v5, 1, v1
	v_cmp_le_u32_e64 s[0:1], s10, v2
	v_cndmask_b32_e64 v1, v1, v5, s[0:1]
	v_addc_co_u32_e32 v1, vcc, 1, v1, vcc
	s_cmp_eq_u32 s10, 1
	v_cmp_lt_u32_e32 vcc, 1, v1
	s_cselect_b64 s[0:1], -1, 0
	s_and_b64 s[4:5], vcc, s[0:1]
	s_mov_b64 s[0:1], -1
	s_and_saveexec_b64 s[2:3], s[4:5]
	s_cbranch_execz .LBB18_38
; %bb.35:
	s_lshl_b64 s[0:1], s[14:15], 2
	s_add_u32 s6, s12, s0
	s_addc_u32 s0, s13, s1
	v_and_b32_e32 v5, -2, v1
	s_mov_b64 s[4:5], 0
	v_mov_b32_e32 v6, s0
	v_mov_b32_e32 v2, v0
	;; [unrolled: 1-line block ×3, first 2 shown]
.LBB18_36:                              ; =>This Inner Loop Header: Depth=1
	v_lshlrev_b64 v[8:9], 2, v[2:3]
	v_add_co_u32_e32 v8, vcc, s6, v8
	v_addc_co_u32_e32 v9, vcc, v6, v9, vcc
	global_load_dwordx2 v[10:11], v[8:9], off
	v_add_u32_e32 v7, -2, v7
	v_cmp_eq_u32_e32 vcc, 0, v7
	s_or_b64 s[4:5], vcc, s[4:5]
	v_add_u32_e32 v2, 2, v2
	s_waitcnt vmcnt(0) lgkmcnt(0)
	v_div_scale_f32 v12, s[0:1], v4, v4, v11
	v_div_scale_f32 v14, s[0:1], v4, v4, v10
	v_rcp_f32_e32 v16, v12
	v_rcp_f32_e32 v17, v14
	v_div_scale_f32 v13, vcc, v11, v4, v11
	v_fma_f32 v18, -v12, v16, 1.0
	v_fma_f32 v19, -v14, v17, 1.0
	v_fmac_f32_e32 v16, v18, v16
	v_div_scale_f32 v15, s[0:1], v10, v4, v10
	v_fmac_f32_e32 v17, v19, v17
	v_mul_f32_e32 v18, v13, v16
	v_mul_f32_e32 v19, v15, v17
	v_fma_f32 v20, -v12, v18, v13
	v_fma_f32 v21, -v14, v19, v15
	v_fmac_f32_e32 v18, v20, v16
	v_fmac_f32_e32 v19, v21, v17
	v_fma_f32 v12, -v12, v18, v13
	v_fma_f32 v13, -v14, v19, v15
	v_div_fmas_f32 v12, v12, v16, v18
	s_mov_b64 vcc, s[0:1]
	v_div_fixup_f32 v11, v12, v4, v11
	v_div_fmas_f32 v12, v13, v17, v19
	v_div_fixup_f32 v10, v12, v4, v10
	global_store_dwordx2 v[8:9], v[10:11], off
	s_andn2_b64 exec, exec, s[4:5]
	s_cbranch_execnz .LBB18_36
; %bb.37:
	s_or_b64 exec, exec, s[4:5]
	v_cmp_ne_u32_e32 vcc, v1, v5
	v_add_u32_e32 v0, v0, v5
	s_orn2_b64 s[0:1], vcc, exec
.LBB18_38:
	s_or_b64 exec, exec, s[2:3]
	s_and_b64 exec, exec, s[0:1]
	s_cbranch_execz .LBB18_41
; %bb.39:
	s_lshl_b64 s[0:1], s[14:15], 2
	v_mov_b32_e32 v1, 0
	s_add_u32 s0, s12, s0
	v_lshlrev_b64 v[2:3], 2, v[0:1]
	s_addc_u32 s1, s13, s1
	s_mov_b32 s3, 0
	v_mov_b32_e32 v1, s1
	v_add_co_u32_e32 v2, vcc, s0, v2
	v_addc_co_u32_e32 v3, vcc, v1, v3, vcc
	s_lshl_b32 s2, s10, 2
	s_mov_b64 s[0:1], 0
	v_mov_b32_e32 v1, s3
.LBB18_40:                              ; =>This Inner Loop Header: Depth=1
	global_load_dword v5, v[2:3], off
	v_add_u32_e32 v0, s10, v0
	v_cmp_le_i32_e32 vcc, s11, v0
	s_or_b64 s[0:1], vcc, s[0:1]
	s_waitcnt vmcnt(0) lgkmcnt(0)
	v_div_scale_f32 v6, s[4:5], v4, v4, v5
	v_rcp_f32_e32 v7, v6
	v_div_scale_f32 v8, vcc, v5, v4, v5
	v_fma_f32 v9, -v6, v7, 1.0
	v_fmac_f32_e32 v7, v9, v7
	v_mul_f32_e32 v9, v8, v7
	v_fma_f32 v10, -v6, v9, v8
	v_fmac_f32_e32 v9, v10, v7
	v_fma_f32 v6, -v6, v9, v8
	v_div_fmas_f32 v6, v6, v7, v9
	v_div_fixup_f32 v5, v6, v4, v5
	global_store_dword v[2:3], v5, off
	v_add_co_u32_e32 v2, vcc, s2, v2
	v_addc_co_u32_e32 v3, vcc, v3, v1, vcc
	s_andn2_b64 exec, exec, s[0:1]
	s_cbranch_execnz .LBB18_40
.LBB18_41:
	s_endpgm
.LBB18_42:
	ds_read_b32 v2, v11
	s_or_b64 exec, exec, s[4:5]
	v_cmp_gt_u32_e64 s[4:5], 64, v0
	s_and_saveexec_b64 s[8:9], s[4:5]
	s_cbranch_execz .LBB18_21
.LBB18_43:
	s_waitcnt lgkmcnt(0)
	ds_bpermute_b32 v3, v1, v2
	s_waitcnt lgkmcnt(0)
	v_cmp_ngt_f32_e64 s[6:7], v2, v3
	s_and_saveexec_b64 s[16:17], s[6:7]
	s_cbranch_execz .LBB18_45
; %bb.44:
	ds_bpermute_b32 v2, v1, v2
.LBB18_45:
	s_or_b64 exec, exec, s[16:17]
	s_waitcnt lgkmcnt(0)
	ds_bpermute_b32 v3, v4, v2
	s_waitcnt lgkmcnt(0)
	v_cmp_ngt_f32_e64 s[6:7], v2, v3
	s_and_saveexec_b64 s[16:17], s[6:7]
	s_cbranch_execz .LBB18_47
; %bb.46:
	ds_bpermute_b32 v2, v4, v2
.LBB18_47:
	s_or_b64 exec, exec, s[16:17]
	;; [unrolled: 10-line block ×6, first 2 shown]
	s_or_b64 exec, exec, s[8:9]
	v_cmp_eq_u32_e64 s[6:7], 0, v0
	s_and_saveexec_b64 s[8:9], s[6:7]
	s_cbranch_execnz .LBB18_22
	s_branch .LBB18_23
.LBB18_56:
	ds_read_b32 v2, v11 offset:64
	s_or_b64 exec, exec, s[0:1]
	s_and_saveexec_b64 s[0:1], s[4:5]
	s_cbranch_execz .LBB18_31
.LBB18_57:
	s_waitcnt lgkmcnt(0)
	ds_bpermute_b32 v1, v1, v2
	s_waitcnt lgkmcnt(0)
	v_add_f32_e32 v1, v2, v1
	ds_bpermute_b32 v2, v4, v1
	s_waitcnt lgkmcnt(0)
	v_add_f32_e32 v1, v1, v2
	ds_bpermute_b32 v2, v5, v1
	s_waitcnt lgkmcnt(0)
	v_add_f32_e32 v1, v1, v2
	ds_bpermute_b32 v2, v7, v1
	s_waitcnt lgkmcnt(0)
	v_add_f32_e32 v1, v1, v2
	ds_bpermute_b32 v2, v8, v1
	s_waitcnt lgkmcnt(0)
	v_add_f32_e32 v1, v1, v2
	ds_bpermute_b32 v2, v9, v1
	s_waitcnt lgkmcnt(0)
	v_add_f32_e32 v2, v1, v2
	s_or_b64 exec, exec, s[0:1]
	s_and_saveexec_b64 s[0:1], s[6:7]
	s_cbranch_execnz .LBB18_32
	s_branch .LBB18_33
	.section	.rodata,"a",@progbits
	.p2align	6, 0x0
	.amdhsa_kernel _Z14softmax_kernelPfii
		.amdhsa_group_segment_fixed_size 136
		.amdhsa_private_segment_fixed_size 0
		.amdhsa_kernarg_size 272
		.amdhsa_user_sgpr_count 6
		.amdhsa_user_sgpr_private_segment_buffer 1
		.amdhsa_user_sgpr_dispatch_ptr 0
		.amdhsa_user_sgpr_queue_ptr 0
		.amdhsa_user_sgpr_kernarg_segment_ptr 1
		.amdhsa_user_sgpr_dispatch_id 0
		.amdhsa_user_sgpr_flat_scratch_init 0
		.amdhsa_user_sgpr_kernarg_preload_length 0
		.amdhsa_user_sgpr_kernarg_preload_offset 0
		.amdhsa_user_sgpr_private_segment_size 0
		.amdhsa_uses_dynamic_stack 0
		.amdhsa_system_sgpr_private_segment_wavefront_offset 0
		.amdhsa_system_sgpr_workgroup_id_x 1
		.amdhsa_system_sgpr_workgroup_id_y 0
		.amdhsa_system_sgpr_workgroup_id_z 0
		.amdhsa_system_sgpr_workgroup_info 0
		.amdhsa_system_vgpr_workitem_id 0
		.amdhsa_next_free_vgpr 22
		.amdhsa_next_free_sgpr 25
		.amdhsa_accum_offset 24
		.amdhsa_reserve_vcc 1
		.amdhsa_reserve_flat_scratch 0
		.amdhsa_float_round_mode_32 0
		.amdhsa_float_round_mode_16_64 0
		.amdhsa_float_denorm_mode_32 3
		.amdhsa_float_denorm_mode_16_64 3
		.amdhsa_dx10_clamp 1
		.amdhsa_ieee_mode 1
		.amdhsa_fp16_overflow 0
		.amdhsa_tg_split 0
		.amdhsa_exception_fp_ieee_invalid_op 0
		.amdhsa_exception_fp_denorm_src 0
		.amdhsa_exception_fp_ieee_div_zero 0
		.amdhsa_exception_fp_ieee_overflow 0
		.amdhsa_exception_fp_ieee_underflow 0
		.amdhsa_exception_fp_ieee_inexact 0
		.amdhsa_exception_int_div_zero 0
	.end_amdhsa_kernel
	.text
.Lfunc_end18:
	.size	_Z14softmax_kernelPfii, .Lfunc_end18-_Z14softmax_kernelPfii
                                        ; -- End function
	.section	.AMDGPU.csdata,"",@progbits
; Kernel info:
; codeLenInByte = 2340
; NumSgprs: 29
; NumVgprs: 22
; NumAgprs: 0
; TotalNumVgprs: 22
; ScratchSize: 0
; MemoryBound: 0
; FloatMode: 240
; IeeeMode: 1
; LDSByteSize: 136 bytes/workgroup (compile time only)
; SGPRBlocks: 3
; VGPRBlocks: 2
; NumSGPRsForWavesPerEU: 29
; NumVGPRsForWavesPerEU: 22
; AccumOffset: 24
; Occupancy: 8
; WaveLimiterHint : 0
; COMPUTE_PGM_RSRC2:SCRATCH_EN: 0
; COMPUTE_PGM_RSRC2:USER_SGPR: 6
; COMPUTE_PGM_RSRC2:TRAP_HANDLER: 0
; COMPUTE_PGM_RSRC2:TGID_X_EN: 1
; COMPUTE_PGM_RSRC2:TGID_Y_EN: 0
; COMPUTE_PGM_RSRC2:TGID_Z_EN: 0
; COMPUTE_PGM_RSRC2:TIDIG_COMP_CNT: 0
; COMPUTE_PGM_RSRC3_GFX90A:ACCUM_OFFSET: 5
; COMPUTE_PGM_RSRC3_GFX90A:TG_SPLIT: 0
	.text
	.protected	_Z11topk_kernelPfS_Piiii ; -- Begin function _Z11topk_kernelPfS_Piiii
	.globl	_Z11topk_kernelPfS_Piiii
	.p2align	8
	.type	_Z11topk_kernelPfS_Piiii,@function
_Z11topk_kernelPfS_Piiii:               ; @_Z11topk_kernelPfS_Piiii
; %bb.0:
	s_load_dwordx4 s[8:11], s[4:5], 0x18
	s_waitcnt lgkmcnt(0)
	s_cmp_ge_i32 s6, s8
	s_cbranch_scc1 .LBB19_24
; %bb.1:
	s_load_dwordx4 s[0:3], s[4:5], 0x0
	s_load_dwordx2 s[12:13], s[4:5], 0x10
	v_cmp_gt_i32_e32 vcc, s9, v0
	v_mov_b32_e32 v2, 0xff7ff023
	v_mov_b32_e32 v3, -1
	v_lshlrev_b32_e32 v1, 2, v0
	s_and_saveexec_b64 s[4:5], vcc
	s_cbranch_execz .LBB19_3
; %bb.2:
	s_mul_i32 s14, s6, s9
	s_ashr_i32 s15, s14, 31
	s_lshl_b64 s[14:15], s[14:15], 2
	s_waitcnt lgkmcnt(0)
	s_add_u32 s0, s0, s14
	s_addc_u32 s1, s1, s15
	global_load_dword v2, v1, s[0:1]
	v_mov_b32_e32 v3, v0
.LBB19_3:
	s_or_b64 exec, exec, s[4:5]
	v_cmp_eq_u32_e32 vcc, 0, v0
	s_waitcnt vmcnt(0)
	ds_write2st64_b32 v1, v2, v3 offset1:16
	s_waitcnt lgkmcnt(0)
	s_barrier
	s_and_saveexec_b64 s[0:1], vcc
	s_cbranch_execz .LBB19_22
; %bb.4:
	s_min_i32 s5, s10, s9
	s_cmp_lt_i32 s5, 1
	s_cbranch_scc1 .LBB19_22
; %bb.5:
	s_cmp_eq_u32 s5, 1
	s_mov_b32 s4, 0
	s_cbranch_scc1 .LBB19_16
; %bb.6:
	s_and_b32 s4, s5, 0x7ffffffe
	s_mov_b32 s7, 0
	s_mov_b32 s8, 4
	;; [unrolled: 1-line block ×3, first 2 shown]
	s_branch .LBB19_8
.LBB19_7:                               ;   in Loop: Header=BB19_8 Depth=1
	s_add_i32 s8, s8, 8
	s_add_i32 s11, s11, 8
	s_cmp_lg_u32 s7, s4
	s_cbranch_scc0 .LBB19_16
.LBB19_8:                               ; =>This Loop Header: Depth=1
                                        ;     Child Loop BB19_9 Depth 2
                                        ;     Child Loop BB19_13 Depth 2
	s_lshl_b32 s14, s7, 2
	v_mov_b32_e32 v2, s14
	ds_read_b32 v2, v2
	s_or_b32 s15, s7, 1
	s_cmp_ge_i32 s15, s9
	s_mov_b32 s16, s7
	s_mov_b32 s17, s8
	;; [unrolled: 1-line block ×3, first 2 shown]
	s_waitcnt lgkmcnt(0)
	v_mov_b32_e32 v3, v2
	s_cbranch_scc1 .LBB19_10
.LBB19_9:                               ;   Parent Loop BB19_8 Depth=1
                                        ; =>  This Inner Loop Header: Depth=2
	v_mov_b32_e32 v4, s17
	ds_read_b32 v4, v4
	s_waitcnt lgkmcnt(0)
	v_cmp_gt_f32_e32 vcc, v4, v3
	s_and_b64 s[20:21], vcc, exec
	s_cselect_b32 s16, s18, s16
	s_add_i32 s18, s18, 1
	s_add_i32 s17, s17, 4
	v_cndmask_b32_e32 v3, v3, v4, vcc
	s_cmp_ge_i32 s18, s9
	s_cbranch_scc0 .LBB19_9
.LBB19_10:                              ;   in Loop: Header=BB19_8 Depth=1
	s_cmp_lg_u32 s16, s7
	s_cbranch_scc0 .LBB19_12
; %bb.11:                               ;   in Loop: Header=BB19_8 Depth=1
	s_lshl_b32 s16, s16, 2
	v_mov_b32_e32 v3, s16
	ds_read2st64_b32 v[4:5], v3 offset1:16
	v_mov_b32_e32 v6, s14
	ds_read_b32 v7, v6 offset:4096
	s_waitcnt lgkmcnt(1)
	ds_write_b32 v6, v4
	ds_write_b32 v6, v5 offset:4096
	s_waitcnt lgkmcnt(2)
	ds_write2st64_b32 v3, v2, v7 offset1:16
.LBB19_12:                              ;   in Loop: Header=BB19_8 Depth=1
	v_mov_b32_e32 v2, s14
	ds_read_b32 v2, v2 offset:4
	s_add_i32 s7, s7, 2
	s_cmp_ge_i32 s7, s9
	s_mov_b32 s16, s15
	s_mov_b32 s17, s11
	;; [unrolled: 1-line block ×3, first 2 shown]
	s_waitcnt lgkmcnt(0)
	v_mov_b32_e32 v3, v2
	s_cbranch_scc1 .LBB19_14
.LBB19_13:                              ;   Parent Loop BB19_8 Depth=1
                                        ; =>  This Inner Loop Header: Depth=2
	v_mov_b32_e32 v4, s17
	ds_read_b32 v4, v4
	s_waitcnt lgkmcnt(0)
	v_cmp_gt_f32_e32 vcc, v4, v3
	s_and_b64 s[20:21], vcc, exec
	s_cselect_b32 s16, s18, s16
	s_add_i32 s18, s18, 1
	s_add_i32 s17, s17, 4
	v_cndmask_b32_e32 v3, v3, v4, vcc
	s_cmp_lt_i32 s18, s9
	s_cbranch_scc1 .LBB19_13
.LBB19_14:                              ;   in Loop: Header=BB19_8 Depth=1
	s_cmp_eq_u32 s16, s15
	s_cbranch_scc1 .LBB19_7
; %bb.15:                               ;   in Loop: Header=BB19_8 Depth=1
	s_lshl_b32 s15, s16, 2
	v_mov_b32_e32 v3, s15
	ds_read2st64_b32 v[4:5], v3 offset1:16
	v_mov_b32_e32 v6, s14
	ds_read_b32 v7, v6 offset:4100
	s_waitcnt lgkmcnt(1)
	ds_write_b32 v6, v4 offset:4
	ds_write_b32 v6, v5 offset:4100
	s_waitcnt lgkmcnt(2)
	ds_write2st64_b32 v3, v2, v7 offset1:16
	s_branch .LBB19_7
.LBB19_16:
	s_bitcmp0_b32 s5, 0
	s_cbranch_scc1 .LBB19_22
; %bb.17:
	s_lshl_b32 s5, s4, 2
	v_mov_b32_e32 v2, s5
	ds_read_b32 v2, v2
	s_add_i32 s8, s4, 1
	s_cmp_ge_i32 s8, s9
	s_mov_b32 s7, s4
	s_cbranch_scc1 .LBB19_20
; %bb.18:
	s_add_i32 s11, s5, 4
	s_waitcnt lgkmcnt(0)
	v_mov_b32_e32 v3, v2
	s_mov_b32 s7, s4
.LBB19_19:                              ; =>This Inner Loop Header: Depth=1
	v_mov_b32_e32 v4, s11
	ds_read_b32 v4, v4
	s_waitcnt lgkmcnt(0)
	v_cmp_gt_f32_e32 vcc, v4, v3
	s_and_b64 s[14:15], vcc, exec
	s_cselect_b32 s7, s8, s7
	s_add_i32 s8, s8, 1
	s_add_i32 s11, s11, 4
	v_cndmask_b32_e32 v3, v3, v4, vcc
	s_cmp_lt_i32 s8, s9
	s_cbranch_scc1 .LBB19_19
.LBB19_20:
	s_cmp_eq_u32 s7, s4
	s_cbranch_scc1 .LBB19_22
; %bb.21:
	s_lshl_b32 s4, s7, 2
	v_mov_b32_e32 v3, s4
	ds_read2st64_b32 v[4:5], v3 offset1:16
	v_mov_b32_e32 v6, s5
	ds_read_b32 v7, v6 offset:4096
	v_mov_b32_e32 v8, s5
	s_waitcnt lgkmcnt(1)
	ds_write_b32 v8, v4
	ds_write_b32 v6, v5 offset:4096
	s_waitcnt lgkmcnt(2)
	ds_write2st64_b32 v3, v2, v7 offset1:16
.LBB19_22:
	s_or_b64 exec, exec, s[0:1]
	v_cmp_gt_i32_e32 vcc, s10, v0
	s_waitcnt lgkmcnt(0)
	s_barrier
	s_and_saveexec_b64 s[0:1], vcc
	s_cbranch_execz .LBB19_24
; %bb.23:
	v_or_b32_e32 v0, 0x1000, v1
	s_mul_i32 s0, s6, s10
	s_ashr_i32 s1, s0, 31
	ds_read_b32 v2, v1
	ds_read_b32 v0, v0
	s_lshl_b64 s[0:1], s[0:1], 2
	s_add_u32 s2, s2, s0
	s_addc_u32 s3, s3, s1
	s_add_u32 s0, s12, s0
	s_addc_u32 s1, s13, s1
	s_waitcnt lgkmcnt(1)
	global_store_dword v1, v2, s[2:3]
	s_waitcnt lgkmcnt(0)
	global_store_dword v1, v0, s[0:1]
.LBB19_24:
	s_endpgm
	.section	.rodata,"a",@progbits
	.p2align	6, 0x0
	.amdhsa_kernel _Z11topk_kernelPfS_Piiii
		.amdhsa_group_segment_fixed_size 8192
		.amdhsa_private_segment_fixed_size 0
		.amdhsa_kernarg_size 36
		.amdhsa_user_sgpr_count 6
		.amdhsa_user_sgpr_private_segment_buffer 1
		.amdhsa_user_sgpr_dispatch_ptr 0
		.amdhsa_user_sgpr_queue_ptr 0
		.amdhsa_user_sgpr_kernarg_segment_ptr 1
		.amdhsa_user_sgpr_dispatch_id 0
		.amdhsa_user_sgpr_flat_scratch_init 0
		.amdhsa_user_sgpr_kernarg_preload_length 0
		.amdhsa_user_sgpr_kernarg_preload_offset 0
		.amdhsa_user_sgpr_private_segment_size 0
		.amdhsa_uses_dynamic_stack 0
		.amdhsa_system_sgpr_private_segment_wavefront_offset 0
		.amdhsa_system_sgpr_workgroup_id_x 1
		.amdhsa_system_sgpr_workgroup_id_y 0
		.amdhsa_system_sgpr_workgroup_id_z 0
		.amdhsa_system_sgpr_workgroup_info 0
		.amdhsa_system_vgpr_workitem_id 0
		.amdhsa_next_free_vgpr 9
		.amdhsa_next_free_sgpr 22
		.amdhsa_accum_offset 12
		.amdhsa_reserve_vcc 1
		.amdhsa_reserve_flat_scratch 0
		.amdhsa_float_round_mode_32 0
		.amdhsa_float_round_mode_16_64 0
		.amdhsa_float_denorm_mode_32 3
		.amdhsa_float_denorm_mode_16_64 3
		.amdhsa_dx10_clamp 1
		.amdhsa_ieee_mode 1
		.amdhsa_fp16_overflow 0
		.amdhsa_tg_split 0
		.amdhsa_exception_fp_ieee_invalid_op 0
		.amdhsa_exception_fp_denorm_src 0
		.amdhsa_exception_fp_ieee_div_zero 0
		.amdhsa_exception_fp_ieee_overflow 0
		.amdhsa_exception_fp_ieee_underflow 0
		.amdhsa_exception_fp_ieee_inexact 0
		.amdhsa_exception_int_div_zero 0
	.end_amdhsa_kernel
	.text
.Lfunc_end19:
	.size	_Z11topk_kernelPfS_Piiii, .Lfunc_end19-_Z11topk_kernelPfS_Piiii
                                        ; -- End function
	.section	.AMDGPU.csdata,"",@progbits
; Kernel info:
; codeLenInByte = 808
; NumSgprs: 26
; NumVgprs: 9
; NumAgprs: 0
; TotalNumVgprs: 9
; ScratchSize: 0
; MemoryBound: 0
; FloatMode: 240
; IeeeMode: 1
; LDSByteSize: 8192 bytes/workgroup (compile time only)
; SGPRBlocks: 3
; VGPRBlocks: 1
; NumSGPRsForWavesPerEU: 26
; NumVGPRsForWavesPerEU: 9
; AccumOffset: 12
; Occupancy: 8
; WaveLimiterHint : 0
; COMPUTE_PGM_RSRC2:SCRATCH_EN: 0
; COMPUTE_PGM_RSRC2:USER_SGPR: 6
; COMPUTE_PGM_RSRC2:TRAP_HANDLER: 0
; COMPUTE_PGM_RSRC2:TGID_X_EN: 1
; COMPUTE_PGM_RSRC2:TGID_Y_EN: 0
; COMPUTE_PGM_RSRC2:TGID_Z_EN: 0
; COMPUTE_PGM_RSRC2:TIDIG_COMP_CNT: 0
; COMPUTE_PGM_RSRC3_GFX90A:ACCUM_OFFSET: 2
; COMPUTE_PGM_RSRC3_GFX90A:TG_SPLIT: 0
	.text
	.protected	_Z13vecadd_kernelPfS_fii ; -- Begin function _Z13vecadd_kernelPfS_fii
	.globl	_Z13vecadd_kernelPfS_fii
	.p2align	8
	.type	_Z13vecadd_kernelPfS_fii,@function
_Z13vecadd_kernelPfS_fii:               ; @_Z13vecadd_kernelPfS_fii
; %bb.0:
	s_load_dword s8, s[4:5], 0x2c
	s_load_dwordx4 s[0:3], s[4:5], 0x10
	s_waitcnt lgkmcnt(0)
	s_and_b32 s3, s8, 0xffff
	s_mul_i32 s6, s6, s3
	v_add_u32_e32 v0, s6, v0
	s_cmp_lt_i32 s7, s1
	s_cselect_b64 s[8:9], -1, 0
	v_cmp_gt_i32_e32 vcc, s2, v0
	s_and_b64 s[8:9], s[8:9], vcc
	s_and_saveexec_b64 s[10:11], s[8:9]
	s_cbranch_execz .LBB20_2
; %bb.1:
	s_load_dwordx4 s[8:11], s[4:5], 0x0
	s_mul_i32 s7, s7, s2
	v_add_u32_e32 v0, s7, v0
	v_ashrrev_i32_e32 v1, 31, v0
	v_lshlrev_b64 v[0:1], 2, v[0:1]
	s_waitcnt lgkmcnt(0)
	v_mov_b32_e32 v3, s11
	v_add_co_u32_e32 v2, vcc, s10, v0
	v_addc_co_u32_e32 v3, vcc, v3, v1, vcc
	global_load_dword v2, v[2:3], off
	v_mov_b32_e32 v3, s9
	v_add_co_u32_e32 v0, vcc, s8, v0
	v_addc_co_u32_e32 v1, vcc, v3, v1, vcc
	global_load_dword v3, v[0:1], off
	s_waitcnt vmcnt(0)
	v_fmac_f32_e32 v3, s0, v2
	global_store_dword v[0:1], v3, off
.LBB20_2:
	s_endpgm
	.section	.rodata,"a",@progbits
	.p2align	6, 0x0
	.amdhsa_kernel _Z13vecadd_kernelPfS_fii
		.amdhsa_group_segment_fixed_size 0
		.amdhsa_private_segment_fixed_size 0
		.amdhsa_kernarg_size 288
		.amdhsa_user_sgpr_count 6
		.amdhsa_user_sgpr_private_segment_buffer 1
		.amdhsa_user_sgpr_dispatch_ptr 0
		.amdhsa_user_sgpr_queue_ptr 0
		.amdhsa_user_sgpr_kernarg_segment_ptr 1
		.amdhsa_user_sgpr_dispatch_id 0
		.amdhsa_user_sgpr_flat_scratch_init 0
		.amdhsa_user_sgpr_kernarg_preload_length 0
		.amdhsa_user_sgpr_kernarg_preload_offset 0
		.amdhsa_user_sgpr_private_segment_size 0
		.amdhsa_uses_dynamic_stack 0
		.amdhsa_system_sgpr_private_segment_wavefront_offset 0
		.amdhsa_system_sgpr_workgroup_id_x 1
		.amdhsa_system_sgpr_workgroup_id_y 1
		.amdhsa_system_sgpr_workgroup_id_z 0
		.amdhsa_system_sgpr_workgroup_info 0
		.amdhsa_system_vgpr_workitem_id 0
		.amdhsa_next_free_vgpr 4
		.amdhsa_next_free_sgpr 12
		.amdhsa_accum_offset 4
		.amdhsa_reserve_vcc 1
		.amdhsa_reserve_flat_scratch 0
		.amdhsa_float_round_mode_32 0
		.amdhsa_float_round_mode_16_64 0
		.amdhsa_float_denorm_mode_32 3
		.amdhsa_float_denorm_mode_16_64 3
		.amdhsa_dx10_clamp 1
		.amdhsa_ieee_mode 1
		.amdhsa_fp16_overflow 0
		.amdhsa_tg_split 0
		.amdhsa_exception_fp_ieee_invalid_op 0
		.amdhsa_exception_fp_denorm_src 0
		.amdhsa_exception_fp_ieee_div_zero 0
		.amdhsa_exception_fp_ieee_overflow 0
		.amdhsa_exception_fp_ieee_underflow 0
		.amdhsa_exception_fp_ieee_inexact 0
		.amdhsa_exception_int_div_zero 0
	.end_amdhsa_kernel
	.text
.Lfunc_end20:
	.size	_Z13vecadd_kernelPfS_fii, .Lfunc_end20-_Z13vecadd_kernelPfS_fii
                                        ; -- End function
	.section	.AMDGPU.csdata,"",@progbits
; Kernel info:
; codeLenInByte = 152
; NumSgprs: 16
; NumVgprs: 4
; NumAgprs: 0
; TotalNumVgprs: 4
; ScratchSize: 0
; MemoryBound: 0
; FloatMode: 240
; IeeeMode: 1
; LDSByteSize: 0 bytes/workgroup (compile time only)
; SGPRBlocks: 1
; VGPRBlocks: 0
; NumSGPRsForWavesPerEU: 16
; NumVGPRsForWavesPerEU: 4
; AccumOffset: 4
; Occupancy: 8
; WaveLimiterHint : 0
; COMPUTE_PGM_RSRC2:SCRATCH_EN: 0
; COMPUTE_PGM_RSRC2:USER_SGPR: 6
; COMPUTE_PGM_RSRC2:TRAP_HANDLER: 0
; COMPUTE_PGM_RSRC2:TGID_X_EN: 1
; COMPUTE_PGM_RSRC2:TGID_Y_EN: 1
; COMPUTE_PGM_RSRC2:TGID_Z_EN: 0
; COMPUTE_PGM_RSRC2:TIDIG_COMP_CNT: 0
; COMPUTE_PGM_RSRC3_GFX90A:ACCUM_OFFSET: 0
; COMPUTE_PGM_RSRC3_GFX90A:TG_SPLIT: 0
	.text
	.protected	_Z22vecadd_and_zero_kernelPfS_fii ; -- Begin function _Z22vecadd_and_zero_kernelPfS_fii
	.globl	_Z22vecadd_and_zero_kernelPfS_fii
	.p2align	8
	.type	_Z22vecadd_and_zero_kernelPfS_fii,@function
_Z22vecadd_and_zero_kernelPfS_fii:      ; @_Z22vecadd_and_zero_kernelPfS_fii
; %bb.0:
	s_load_dword s8, s[4:5], 0x2c
	s_load_dwordx4 s[0:3], s[4:5], 0x10
	s_waitcnt lgkmcnt(0)
	s_and_b32 s3, s8, 0xffff
	s_mul_i32 s6, s6, s3
	v_add_u32_e32 v0, s6, v0
	s_cmp_lt_i32 s7, s1
	s_cselect_b64 s[8:9], -1, 0
	v_cmp_gt_i32_e32 vcc, s2, v0
	s_and_b64 s[8:9], s[8:9], vcc
	s_and_saveexec_b64 s[10:11], s[8:9]
	s_cbranch_execz .LBB21_2
; %bb.1:
	s_load_dwordx4 s[8:11], s[4:5], 0x0
	s_mul_i32 s7, s7, s2
	v_add_u32_e32 v0, s7, v0
	v_ashrrev_i32_e32 v1, 31, v0
	v_lshlrev_b64 v[0:1], 2, v[0:1]
	s_waitcnt lgkmcnt(0)
	v_mov_b32_e32 v3, s11
	v_add_co_u32_e32 v2, vcc, s10, v0
	v_addc_co_u32_e32 v3, vcc, v3, v1, vcc
	v_mov_b32_e32 v5, s9
	v_add_co_u32_e32 v0, vcc, s8, v0
	v_addc_co_u32_e32 v1, vcc, v5, v1, vcc
	global_load_dword v4, v[2:3], off
	global_load_dword v5, v[0:1], off
	v_mov_b32_e32 v6, 0
	s_waitcnt vmcnt(0)
	v_fmac_f32_e32 v5, s0, v4
	global_store_dword v[0:1], v5, off
	global_store_dword v[2:3], v6, off
.LBB21_2:
	s_endpgm
	.section	.rodata,"a",@progbits
	.p2align	6, 0x0
	.amdhsa_kernel _Z22vecadd_and_zero_kernelPfS_fii
		.amdhsa_group_segment_fixed_size 0
		.amdhsa_private_segment_fixed_size 0
		.amdhsa_kernarg_size 288
		.amdhsa_user_sgpr_count 6
		.amdhsa_user_sgpr_private_segment_buffer 1
		.amdhsa_user_sgpr_dispatch_ptr 0
		.amdhsa_user_sgpr_queue_ptr 0
		.amdhsa_user_sgpr_kernarg_segment_ptr 1
		.amdhsa_user_sgpr_dispatch_id 0
		.amdhsa_user_sgpr_flat_scratch_init 0
		.amdhsa_user_sgpr_kernarg_preload_length 0
		.amdhsa_user_sgpr_kernarg_preload_offset 0
		.amdhsa_user_sgpr_private_segment_size 0
		.amdhsa_uses_dynamic_stack 0
		.amdhsa_system_sgpr_private_segment_wavefront_offset 0
		.amdhsa_system_sgpr_workgroup_id_x 1
		.amdhsa_system_sgpr_workgroup_id_y 1
		.amdhsa_system_sgpr_workgroup_id_z 0
		.amdhsa_system_sgpr_workgroup_info 0
		.amdhsa_system_vgpr_workitem_id 0
		.amdhsa_next_free_vgpr 7
		.amdhsa_next_free_sgpr 12
		.amdhsa_accum_offset 8
		.amdhsa_reserve_vcc 1
		.amdhsa_reserve_flat_scratch 0
		.amdhsa_float_round_mode_32 0
		.amdhsa_float_round_mode_16_64 0
		.amdhsa_float_denorm_mode_32 3
		.amdhsa_float_denorm_mode_16_64 3
		.amdhsa_dx10_clamp 1
		.amdhsa_ieee_mode 1
		.amdhsa_fp16_overflow 0
		.amdhsa_tg_split 0
		.amdhsa_exception_fp_ieee_invalid_op 0
		.amdhsa_exception_fp_denorm_src 0
		.amdhsa_exception_fp_ieee_div_zero 0
		.amdhsa_exception_fp_ieee_overflow 0
		.amdhsa_exception_fp_ieee_underflow 0
		.amdhsa_exception_fp_ieee_inexact 0
		.amdhsa_exception_int_div_zero 0
	.end_amdhsa_kernel
	.text
.Lfunc_end21:
	.size	_Z22vecadd_and_zero_kernelPfS_fii, .Lfunc_end21-_Z22vecadd_and_zero_kernelPfS_fii
                                        ; -- End function
	.section	.AMDGPU.csdata,"",@progbits
; Kernel info:
; codeLenInByte = 164
; NumSgprs: 16
; NumVgprs: 7
; NumAgprs: 0
; TotalNumVgprs: 7
; ScratchSize: 0
; MemoryBound: 0
; FloatMode: 240
; IeeeMode: 1
; LDSByteSize: 0 bytes/workgroup (compile time only)
; SGPRBlocks: 1
; VGPRBlocks: 0
; NumSGPRsForWavesPerEU: 16
; NumVGPRsForWavesPerEU: 7
; AccumOffset: 8
; Occupancy: 8
; WaveLimiterHint : 0
; COMPUTE_PGM_RSRC2:SCRATCH_EN: 0
; COMPUTE_PGM_RSRC2:USER_SGPR: 6
; COMPUTE_PGM_RSRC2:TRAP_HANDLER: 0
; COMPUTE_PGM_RSRC2:TGID_X_EN: 1
; COMPUTE_PGM_RSRC2:TGID_Y_EN: 1
; COMPUTE_PGM_RSRC2:TGID_Z_EN: 0
; COMPUTE_PGM_RSRC2:TIDIG_COMP_CNT: 0
; COMPUTE_PGM_RSRC3_GFX90A:ACCUM_OFFSET: 1
; COMPUTE_PGM_RSRC3_GFX90A:TG_SPLIT: 0
	.section	.text._Z22fa2_decode_mfma_head64I14__hip_bfloat16Lb1ELi16ELi16EEvPKfPKvS4_S2_PKS0_PfiiiiiiiiPKiS9_xPKxS9_S9_i,"axG",@progbits,_Z22fa2_decode_mfma_head64I14__hip_bfloat16Lb1ELi16ELi16EEvPKfPKvS4_S2_PKS0_PfiiiiiiiiPKiS9_xPKxS9_S9_i,comdat
	.protected	_Z22fa2_decode_mfma_head64I14__hip_bfloat16Lb1ELi16ELi16EEvPKfPKvS4_S2_PKS0_PfiiiiiiiiPKiS9_xPKxS9_S9_i ; -- Begin function _Z22fa2_decode_mfma_head64I14__hip_bfloat16Lb1ELi16ELi16EEvPKfPKvS4_S2_PKS0_PfiiiiiiiiPKiS9_xPKxS9_S9_i
	.globl	_Z22fa2_decode_mfma_head64I14__hip_bfloat16Lb1ELi16ELi16EEvPKfPKvS4_S2_PKS0_PfiiiiiiiiPKiS9_xPKxS9_S9_i
	.p2align	8
	.type	_Z22fa2_decode_mfma_head64I14__hip_bfloat16Lb1ELi16ELi16EEvPKfPKvS4_S2_PKS0_PfiiiiiiiiPKiS9_xPKxS9_S9_i,@function
_Z22fa2_decode_mfma_head64I14__hip_bfloat16Lb1ELi16ELi16EEvPKfPKvS4_S2_PKS0_PfiiiiiiiiPKiS9_xPKxS9_S9_i: ; @_Z22fa2_decode_mfma_head64I14__hip_bfloat16Lb1ELi16ELi16EEvPKfPKvS4_S2_PKS0_PfiiiiiiiiPKiS9_xPKxS9_S9_i
; %bb.0:
	s_load_dwordx2 s[8:9], s[4:5], 0x30
	s_load_dwordx2 s[52:53], s[4:5], 0x3c
	v_cmp_gt_u32_e32 vcc, 64, v0
	s_waitcnt lgkmcnt(0)
	s_cmp_lt_i32 s7, s8
	s_cselect_b64 s[0:1], -1, 0
	s_and_b64 s[0:1], vcc, s[0:1]
	s_cmp_gt_i32 s53, 0
	s_cselect_b64 s[10:11], -1, 0
	s_and_b64 s[0:1], s[0:1], s[10:11]
	s_and_saveexec_b64 s[10:11], s[0:1]
	s_cbranch_execz .LBB22_307
; %bb.1:
	s_load_dwordx2 s[14:15], s[4:5], 0x48
	s_mul_i32 s33, s6, s53
	s_waitcnt lgkmcnt(0)
	s_cmp_ge_i32 s33, s15
	s_cbranch_scc1 .LBB22_307
; %bb.2:
	s_mov_b32 s2, s7
	s_load_dwordx4 s[24:27], s[4:5], 0x50
	s_load_dwordx2 s[0:1], s[4:5], 0x78
	s_load_dwordx4 s[20:23], s[4:5], 0x68
	s_load_dwordx2 s[16:17], s[4:5], 0x0
	s_ashr_i32 s3, s7, 31
	s_lshl_b64 s[10:11], s[2:3], 2
	s_waitcnt lgkmcnt(0)
	s_add_u32 s12, s24, s10
	s_addc_u32 s13, s25, s11
	s_ashr_i32 s25, s14, 31
	s_mov_b32 s24, s14
	s_lshl_b64 s[28:29], s[24:25], 2
	s_add_u32 s18, s0, s28
	s_addc_u32 s19, s1, s29
	s_lshl_b64 s[0:1], s[24:25], 3
	s_add_u32 s20, s20, s0
	s_addc_u32 s21, s21, s1
	s_add_u32 s22, s22, s28
	s_addc_u32 s23, s23, s29
	;; [unrolled: 2-line block ×3, first 2 shown]
	v_cmp_gt_u32_e64 s[0:1], 16, v0
	s_and_saveexec_b64 s[10:11], s[0:1]
	s_cbranch_execz .LBB22_4
; %bb.3:
	v_lshlrev_b32_e32 v1, 2, v0
	v_mov_b32_e32 v2, 0xff800000
	v_mov_b32_e32 v3, 0
	v_add_u32_e32 v1, 0x1000, v1
	ds_write2_b32 v1, v3, v2 offset0:144 offset1:160
.LBB22_4:
	s_or_b64 exec, exec, s[10:11]
	s_load_dwordx8 s[40:47], s[4:5], 0x8
	s_load_dwordx2 s[54:55], s[4:5], 0x28
	s_load_dwordx2 s[10:11], s[20:21], 0x0
	s_load_dword s68, s[12:13], 0x0
	s_load_dword s8, s[18:19], 0x0
	;; [unrolled: 1-line block ×4, first 2 shown]
	s_mul_hi_i32 s13, s2, s15
	s_mul_i32 s12, s2, s15
	v_and_b32_e32 v38, 15, v0
	s_lshl_b64 s[2:3], s[12:13], 8
	v_add_u32_e32 v2, s33, v38
	s_add_u32 s14, s16, s2
	v_rsq_f32_e32 v1, 0x42800000
	v_ashrrev_i32_e32 v3, 31, v2
	s_addc_u32 s15, s17, s3
	v_lshlrev_b64 v[2:3], 8, v[2:3]
	v_lshrrev_b32_e32 v40, 2, v0
	v_mov_b32_e32 v5, s15
	v_add_co_u32_e32 v4, vcc, s14, v2
	v_and_b32_e32 v39, 12, v40
	v_mov_b32_e32 v23, 0
	v_cmp_gt_u32_e64 s[2:3], s53, v38
	v_addc_co_u32_e32 v5, vcc, v5, v3, vcc
	v_lshlrev_b32_e32 v41, 2, v39
	v_mov_b32_e32 v22, v23
	s_waitcnt lgkmcnt(0)
	s_barrier
	s_and_saveexec_b64 s[14:15], s[2:3]
	s_cbranch_execz .LBB22_22
; %bb.5:
	v_add_co_u32_e32 v2, vcc, v4, v41
	v_addc_co_u32_e32 v3, vcc, 0, v5, vcc
	global_load_dword v6, v[2:3], off
	s_mov_b32 s16, 0x7f800000
	s_waitcnt vmcnt(0)
	v_mul_f32_e32 v7, v1, v6
	v_and_b32_e32 v6, 0x7f800000, v7
	v_cmp_ne_u32_e32 vcc, s16, v6
                                        ; implicit-def: $vgpr6
	s_and_saveexec_b64 s[16:17], vcc
	s_xor_b64 s[16:17], exec, s[16:17]
; %bb.6:
	v_bfe_u32 v6, v7, 16, 1
	s_movk_i32 s18, 0x7fff
	v_add3_u32 v6, v7, v6, s18
                                        ; implicit-def: $vgpr7
; %bb.7:
	s_andn2_saveexec_b64 s[16:17], s[16:17]
; %bb.8:
	v_mov_b32_e32 v6, 0
	v_or_b32_e32 v8, 0x10000, v7
	v_cmp_eq_u32_sdwa vcc, v7, v6 src0_sel:WORD_0 src1_sel:DWORD
	v_cndmask_b32_e32 v6, v8, v7, vcc
; %bb.9:
	s_or_b64 exec, exec, s[16:17]
	global_load_dword v7, v[2:3], off offset:4
	s_mov_b32 s16, 0x7f800000
	s_waitcnt vmcnt(0)
	v_mul_f32_e32 v8, v1, v7
	v_and_b32_e32 v7, 0x7f800000, v8
	v_cmp_ne_u32_e32 vcc, s16, v7
                                        ; implicit-def: $vgpr7
	s_and_saveexec_b64 s[16:17], vcc
	s_xor_b64 s[16:17], exec, s[16:17]
; %bb.10:
	v_bfe_u32 v7, v8, 16, 1
	s_movk_i32 s18, 0x7fff
	v_add3_u32 v7, v8, v7, s18
                                        ; implicit-def: $vgpr8
; %bb.11:
	s_andn2_saveexec_b64 s[16:17], s[16:17]
; %bb.12:
	v_mov_b32_e32 v7, 0
	v_or_b32_e32 v9, 0x10000, v8
	v_cmp_eq_u32_sdwa vcc, v8, v7 src0_sel:WORD_0 src1_sel:DWORD
	v_cndmask_b32_e32 v7, v9, v8, vcc
; %bb.13:
	s_or_b64 exec, exec, s[16:17]
	global_load_dword v2, v[2:3], off offset:8
	s_mov_b32 s16, 0x7f800000
	s_waitcnt vmcnt(0)
	v_mul_f32_e32 v3, v1, v2
	v_and_b32_e32 v2, 0x7f800000, v3
	v_cmp_ne_u32_e32 vcc, s16, v2
                                        ; implicit-def: $vgpr2
	s_and_saveexec_b64 s[16:17], vcc
	s_xor_b64 s[16:17], exec, s[16:17]
; %bb.14:
	v_bfe_u32 v2, v3, 16, 1
	s_movk_i32 s18, 0x7fff
	v_add3_u32 v2, v3, v2, s18
                                        ; implicit-def: $vgpr3
; %bb.15:
	s_andn2_saveexec_b64 s[16:17], s[16:17]
; %bb.16:
	v_mov_b32_e32 v2, 0
	v_or_b32_e32 v8, 0x10000, v3
	v_cmp_eq_u32_sdwa vcc, v3, v2 src0_sel:WORD_0 src1_sel:DWORD
	v_cndmask_b32_e32 v2, v8, v3, vcc
; %bb.17:
	s_or_b64 exec, exec, s[16:17]
	v_lshl_or_b32 v3, v40, 2, 12
	v_add_co_u32_e32 v8, vcc, v4, v3
	v_addc_co_u32_e32 v9, vcc, 0, v5, vcc
	global_load_dword v3, v[8:9], off
	s_mov_b32 s16, 0x7f800000
	s_waitcnt vmcnt(0)
	v_mul_f32_e32 v3, v1, v3
	v_and_b32_e32 v8, 0x7f800000, v3
	v_cmp_ne_u32_e32 vcc, s16, v8
                                        ; implicit-def: $vgpr8
	s_and_saveexec_b64 s[16:17], vcc
	s_xor_b64 s[16:17], exec, s[16:17]
; %bb.18:
	v_bfe_u32 v8, v3, 16, 1
	s_movk_i32 s18, 0x7fff
	v_add3_u32 v8, v3, v8, s18
                                        ; implicit-def: $vgpr3
; %bb.19:
	s_andn2_saveexec_b64 s[16:17], s[16:17]
; %bb.20:
	v_mov_b32_e32 v8, 0
	v_or_b32_e32 v9, 0x10000, v3
	v_cmp_eq_u32_sdwa vcc, v3, v8 src0_sel:WORD_0 src1_sel:DWORD
	v_cndmask_b32_e32 v8, v9, v3, vcc
; %bb.21:
	s_or_b64 exec, exec, s[16:17]
	s_mov_b32 s16, 0x7060302
	v_perm_b32 v22, v7, v6, s16
	v_perm_b32 v23, v8, v2, s16
.LBB22_22:
	s_or_b64 exec, exec, s[14:15]
	v_mov_b32_e32 v25, 0
	s_lshl_b64 s[56:57], s[12:13], 6
	v_mov_b32_e32 v24, v25
	s_and_saveexec_b64 s[12:13], s[2:3]
	s_cbranch_execz .LBB22_40
; %bb.23:
	v_add_co_u32_e32 v2, vcc, v4, v41
	v_addc_co_u32_e32 v3, vcc, 0, v5, vcc
	global_load_dword v6, v[2:3], off offset:64
	s_mov_b32 s14, 0x7f800000
	s_waitcnt vmcnt(0)
	v_mul_f32_e32 v7, v1, v6
	v_and_b32_e32 v6, 0x7f800000, v7
	v_cmp_ne_u32_e32 vcc, s14, v6
                                        ; implicit-def: $vgpr6
	s_and_saveexec_b64 s[14:15], vcc
	s_xor_b64 s[14:15], exec, s[14:15]
; %bb.24:
	v_bfe_u32 v6, v7, 16, 1
	s_movk_i32 s16, 0x7fff
	v_add3_u32 v6, v7, v6, s16
                                        ; implicit-def: $vgpr7
; %bb.25:
	s_andn2_saveexec_b64 s[14:15], s[14:15]
; %bb.26:
	v_mov_b32_e32 v6, 0
	v_or_b32_e32 v8, 0x10000, v7
	v_cmp_eq_u32_sdwa vcc, v7, v6 src0_sel:WORD_0 src1_sel:DWORD
	v_cndmask_b32_e32 v6, v8, v7, vcc
; %bb.27:
	s_or_b64 exec, exec, s[14:15]
	global_load_dword v7, v[2:3], off offset:68
	s_mov_b32 s14, 0x7f800000
	s_waitcnt vmcnt(0)
	v_mul_f32_e32 v8, v1, v7
	v_and_b32_e32 v7, 0x7f800000, v8
	v_cmp_ne_u32_e32 vcc, s14, v7
                                        ; implicit-def: $vgpr7
	s_and_saveexec_b64 s[14:15], vcc
	s_xor_b64 s[14:15], exec, s[14:15]
; %bb.28:
	v_bfe_u32 v7, v8, 16, 1
	s_movk_i32 s16, 0x7fff
	v_add3_u32 v7, v8, v7, s16
                                        ; implicit-def: $vgpr8
; %bb.29:
	s_andn2_saveexec_b64 s[14:15], s[14:15]
; %bb.30:
	v_mov_b32_e32 v7, 0
	v_or_b32_e32 v9, 0x10000, v8
	v_cmp_eq_u32_sdwa vcc, v8, v7 src0_sel:WORD_0 src1_sel:DWORD
	v_cndmask_b32_e32 v7, v9, v8, vcc
; %bb.31:
	s_or_b64 exec, exec, s[14:15]
	global_load_dword v2, v[2:3], off offset:72
	s_mov_b32 s14, 0x7f800000
	s_waitcnt vmcnt(0)
	v_mul_f32_e32 v3, v1, v2
	v_and_b32_e32 v2, 0x7f800000, v3
	v_cmp_ne_u32_e32 vcc, s14, v2
                                        ; implicit-def: $vgpr2
	s_and_saveexec_b64 s[14:15], vcc
	s_xor_b64 s[14:15], exec, s[14:15]
; %bb.32:
	v_bfe_u32 v2, v3, 16, 1
	s_movk_i32 s16, 0x7fff
	v_add3_u32 v2, v3, v2, s16
                                        ; implicit-def: $vgpr3
; %bb.33:
	s_andn2_saveexec_b64 s[14:15], s[14:15]
; %bb.34:
	v_mov_b32_e32 v2, 0
	v_or_b32_e32 v8, 0x10000, v3
	v_cmp_eq_u32_sdwa vcc, v3, v2 src0_sel:WORD_0 src1_sel:DWORD
	v_cndmask_b32_e32 v2, v8, v3, vcc
; %bb.35:
	s_or_b64 exec, exec, s[14:15]
	v_mov_b32_e32 v3, 0x4c
	v_lshl_or_b32 v3, v40, 2, v3
	v_add_co_u32_e32 v8, vcc, v4, v3
	v_addc_co_u32_e32 v9, vcc, 0, v5, vcc
	global_load_dword v3, v[8:9], off
	s_mov_b32 s14, 0x7f800000
	s_waitcnt vmcnt(0)
	v_mul_f32_e32 v3, v1, v3
	v_and_b32_e32 v8, 0x7f800000, v3
	v_cmp_ne_u32_e32 vcc, s14, v8
                                        ; implicit-def: $vgpr8
	s_and_saveexec_b64 s[14:15], vcc
	s_xor_b64 s[14:15], exec, s[14:15]
; %bb.36:
	v_bfe_u32 v8, v3, 16, 1
	s_movk_i32 s16, 0x7fff
	v_add3_u32 v8, v3, v8, s16
                                        ; implicit-def: $vgpr3
; %bb.37:
	s_andn2_saveexec_b64 s[14:15], s[14:15]
; %bb.38:
	v_mov_b32_e32 v8, 0
	v_or_b32_e32 v9, 0x10000, v3
	v_cmp_eq_u32_sdwa vcc, v3, v8 src0_sel:WORD_0 src1_sel:DWORD
	v_cndmask_b32_e32 v8, v9, v3, vcc
; %bb.39:
	s_or_b64 exec, exec, s[14:15]
	s_mov_b32 s14, 0x7060302
	v_perm_b32 v24, v7, v6, s14
	v_perm_b32 v25, v8, v2, s14
.LBB22_40:
	s_or_b64 exec, exec, s[12:13]
	v_mov_b32_e32 v27, 0
	v_mov_b32_e32 v26, v27
	s_and_saveexec_b64 s[12:13], s[2:3]
	s_cbranch_execz .LBB22_58
; %bb.41:
	v_add_co_u32_e32 v2, vcc, v4, v41
	v_addc_co_u32_e32 v3, vcc, 0, v5, vcc
	global_load_dword v6, v[2:3], off offset:128
	s_mov_b32 s14, 0x7f800000
	s_waitcnt vmcnt(0)
	v_mul_f32_e32 v7, v1, v6
	v_and_b32_e32 v6, 0x7f800000, v7
	v_cmp_ne_u32_e32 vcc, s14, v6
                                        ; implicit-def: $vgpr6
	s_and_saveexec_b64 s[14:15], vcc
	s_xor_b64 s[14:15], exec, s[14:15]
; %bb.42:
	v_bfe_u32 v6, v7, 16, 1
	s_movk_i32 s16, 0x7fff
	v_add3_u32 v6, v7, v6, s16
                                        ; implicit-def: $vgpr7
; %bb.43:
	s_andn2_saveexec_b64 s[14:15], s[14:15]
; %bb.44:
	v_mov_b32_e32 v6, 0
	v_or_b32_e32 v8, 0x10000, v7
	v_cmp_eq_u32_sdwa vcc, v7, v6 src0_sel:WORD_0 src1_sel:DWORD
	v_cndmask_b32_e32 v6, v8, v7, vcc
; %bb.45:
	s_or_b64 exec, exec, s[14:15]
	global_load_dword v7, v[2:3], off offset:132
	s_mov_b32 s14, 0x7f800000
	s_waitcnt vmcnt(0)
	v_mul_f32_e32 v8, v1, v7
	v_and_b32_e32 v7, 0x7f800000, v8
	v_cmp_ne_u32_e32 vcc, s14, v7
                                        ; implicit-def: $vgpr7
	s_and_saveexec_b64 s[14:15], vcc
	s_xor_b64 s[14:15], exec, s[14:15]
; %bb.46:
	v_bfe_u32 v7, v8, 16, 1
	s_movk_i32 s16, 0x7fff
	v_add3_u32 v7, v8, v7, s16
                                        ; implicit-def: $vgpr8
; %bb.47:
	s_andn2_saveexec_b64 s[14:15], s[14:15]
; %bb.48:
	v_mov_b32_e32 v7, 0
	v_or_b32_e32 v9, 0x10000, v8
	v_cmp_eq_u32_sdwa vcc, v8, v7 src0_sel:WORD_0 src1_sel:DWORD
	v_cndmask_b32_e32 v7, v9, v8, vcc
; %bb.49:
	s_or_b64 exec, exec, s[14:15]
	global_load_dword v2, v[2:3], off offset:136
	s_mov_b32 s14, 0x7f800000
	s_waitcnt vmcnt(0)
	v_mul_f32_e32 v3, v1, v2
	v_and_b32_e32 v2, 0x7f800000, v3
	v_cmp_ne_u32_e32 vcc, s14, v2
                                        ; implicit-def: $vgpr2
	s_and_saveexec_b64 s[14:15], vcc
	s_xor_b64 s[14:15], exec, s[14:15]
; %bb.50:
	v_bfe_u32 v2, v3, 16, 1
	s_movk_i32 s16, 0x7fff
	v_add3_u32 v2, v3, v2, s16
                                        ; implicit-def: $vgpr3
; %bb.51:
	s_andn2_saveexec_b64 s[14:15], s[14:15]
; %bb.52:
	v_mov_b32_e32 v2, 0
	v_or_b32_e32 v8, 0x10000, v3
	v_cmp_eq_u32_sdwa vcc, v3, v2 src0_sel:WORD_0 src1_sel:DWORD
	v_cndmask_b32_e32 v2, v8, v3, vcc
; %bb.53:
	s_or_b64 exec, exec, s[14:15]
	v_mov_b32_e32 v3, 0x8c
	v_lshl_or_b32 v3, v40, 2, v3
	v_add_co_u32_e32 v8, vcc, v4, v3
	v_addc_co_u32_e32 v9, vcc, 0, v5, vcc
	global_load_dword v3, v[8:9], off
	s_mov_b32 s14, 0x7f800000
	s_waitcnt vmcnt(0)
	v_mul_f32_e32 v3, v1, v3
	v_and_b32_e32 v8, 0x7f800000, v3
	v_cmp_ne_u32_e32 vcc, s14, v8
                                        ; implicit-def: $vgpr8
	s_and_saveexec_b64 s[14:15], vcc
	s_xor_b64 s[14:15], exec, s[14:15]
; %bb.54:
	v_bfe_u32 v8, v3, 16, 1
	s_movk_i32 s16, 0x7fff
	v_add3_u32 v8, v3, v8, s16
                                        ; implicit-def: $vgpr3
; %bb.55:
	s_andn2_saveexec_b64 s[14:15], s[14:15]
; %bb.56:
	v_mov_b32_e32 v8, 0
	v_or_b32_e32 v9, 0x10000, v3
	v_cmp_eq_u32_sdwa vcc, v3, v8 src0_sel:WORD_0 src1_sel:DWORD
	v_cndmask_b32_e32 v8, v9, v3, vcc
; %bb.57:
	s_or_b64 exec, exec, s[14:15]
	s_mov_b32 s14, 0x7060302
	v_perm_b32 v26, v7, v6, s14
	v_perm_b32 v27, v8, v2, s14
.LBB22_58:
	s_or_b64 exec, exec, s[12:13]
	v_mov_b32_e32 v29, 0
	v_mov_b32_e32 v28, v29
	s_and_saveexec_b64 s[12:13], s[2:3]
	s_cbranch_execz .LBB22_76
; %bb.59:
	v_add_co_u32_e32 v2, vcc, v4, v41
	v_addc_co_u32_e32 v3, vcc, 0, v5, vcc
	global_load_dword v6, v[2:3], off offset:192
	s_mov_b32 s14, 0x7f800000
	s_waitcnt vmcnt(0)
	v_mul_f32_e32 v7, v1, v6
	v_and_b32_e32 v6, 0x7f800000, v7
	v_cmp_ne_u32_e32 vcc, s14, v6
                                        ; implicit-def: $vgpr6
	s_and_saveexec_b64 s[14:15], vcc
	s_xor_b64 s[14:15], exec, s[14:15]
; %bb.60:
	v_bfe_u32 v6, v7, 16, 1
	s_movk_i32 s16, 0x7fff
	v_add3_u32 v6, v7, v6, s16
                                        ; implicit-def: $vgpr7
; %bb.61:
	s_andn2_saveexec_b64 s[14:15], s[14:15]
; %bb.62:
	v_mov_b32_e32 v6, 0
	v_or_b32_e32 v8, 0x10000, v7
	v_cmp_eq_u32_sdwa vcc, v7, v6 src0_sel:WORD_0 src1_sel:DWORD
	v_cndmask_b32_e32 v6, v8, v7, vcc
; %bb.63:
	s_or_b64 exec, exec, s[14:15]
	global_load_dword v7, v[2:3], off offset:196
	s_mov_b32 s14, 0x7f800000
	s_waitcnt vmcnt(0)
	v_mul_f32_e32 v8, v1, v7
	v_and_b32_e32 v7, 0x7f800000, v8
	v_cmp_ne_u32_e32 vcc, s14, v7
                                        ; implicit-def: $vgpr7
	s_and_saveexec_b64 s[14:15], vcc
	s_xor_b64 s[14:15], exec, s[14:15]
; %bb.64:
	v_bfe_u32 v7, v8, 16, 1
	s_movk_i32 s16, 0x7fff
	v_add3_u32 v7, v8, v7, s16
                                        ; implicit-def: $vgpr8
; %bb.65:
	s_andn2_saveexec_b64 s[14:15], s[14:15]
; %bb.66:
	v_mov_b32_e32 v7, 0
	v_or_b32_e32 v9, 0x10000, v8
	v_cmp_eq_u32_sdwa vcc, v8, v7 src0_sel:WORD_0 src1_sel:DWORD
	v_cndmask_b32_e32 v7, v9, v8, vcc
; %bb.67:
	s_or_b64 exec, exec, s[14:15]
	global_load_dword v2, v[2:3], off offset:200
	s_mov_b32 s14, 0x7f800000
	s_waitcnt vmcnt(0)
	v_mul_f32_e32 v3, v1, v2
	v_and_b32_e32 v2, 0x7f800000, v3
	v_cmp_ne_u32_e32 vcc, s14, v2
                                        ; implicit-def: $vgpr2
	s_and_saveexec_b64 s[14:15], vcc
	s_xor_b64 s[14:15], exec, s[14:15]
; %bb.68:
	v_bfe_u32 v2, v3, 16, 1
	s_movk_i32 s16, 0x7fff
	v_add3_u32 v2, v3, v2, s16
                                        ; implicit-def: $vgpr3
; %bb.69:
	s_andn2_saveexec_b64 s[14:15], s[14:15]
; %bb.70:
	v_mov_b32_e32 v2, 0
	v_or_b32_e32 v8, 0x10000, v3
	v_cmp_eq_u32_sdwa vcc, v3, v2 src0_sel:WORD_0 src1_sel:DWORD
	v_cndmask_b32_e32 v2, v8, v3, vcc
; %bb.71:
	s_or_b64 exec, exec, s[14:15]
	v_mov_b32_e32 v3, 0xcc
	v_lshl_or_b32 v3, v40, 2, v3
	v_add_co_u32_e32 v4, vcc, v4, v3
	v_addc_co_u32_e32 v5, vcc, 0, v5, vcc
	global_load_dword v3, v[4:5], off
	s_mov_b32 s14, 0x7f800000
	s_waitcnt vmcnt(0)
	v_mul_f32_e32 v1, v1, v3
	v_and_b32_e32 v3, 0x7f800000, v1
	v_cmp_ne_u32_e32 vcc, s14, v3
                                        ; implicit-def: $vgpr3
	s_and_saveexec_b64 s[14:15], vcc
	s_xor_b64 s[14:15], exec, s[14:15]
; %bb.72:
	v_bfe_u32 v3, v1, 16, 1
	s_movk_i32 s16, 0x7fff
	v_add3_u32 v3, v1, v3, s16
                                        ; implicit-def: $vgpr1
; %bb.73:
	s_andn2_saveexec_b64 s[14:15], s[14:15]
; %bb.74:
	v_mov_b32_e32 v3, 0
	v_or_b32_e32 v4, 0x10000, v1
	v_cmp_eq_u32_sdwa vcc, v1, v3 src0_sel:WORD_0 src1_sel:DWORD
	v_cndmask_b32_e32 v3, v4, v1, vcc
; %bb.75:
	s_or_b64 exec, exec, s[14:15]
	s_mov_b32 s14, 0x7060302
	v_perm_b32 v28, v7, v6, s14
	v_perm_b32 v29, v3, v2, s14
.LBB22_76:
	s_or_b64 exec, exec, s[12:13]
	s_mov_b32 s48, 0
	s_mov_b32 s49, s48
	;; [unrolled: 1-line block ×4, first 2 shown]
	v_pk_mov_b32 v[10:11], s[48:49], s[48:49] op_sel:[0,1]
	v_pk_mov_b32 v[12:13], s[50:51], s[50:51] op_sel:[0,1]
	s_min_u32 s70, s53, 16
	v_pk_mov_b32 v[2:3], v[10:11], v[10:11] op_sel:[0,1]
	v_pk_mov_b32 v[6:7], v[10:11], v[10:11] op_sel:[0,1]
	;; [unrolled: 1-line block ×3, first 2 shown]
	s_cmp_gt_i32 s68, -1
	v_cmp_gt_u32_e64 s[30:31], s53, v39
	v_cmp_eq_u32_e64 s[28:29], 0, v38
	v_or_b32_e32 v44, 1, v39
	v_or_b32_e32 v43, 2, v39
	;; [unrolled: 1-line block ×3, first 2 shown]
	v_pk_mov_b32 v[4:5], v[12:13], v[12:13] op_sel:[0,1]
	v_pk_mov_b32 v[8:9], v[12:13], v[12:13] op_sel:[0,1]
	;; [unrolled: 1-line block ×3, first 2 shown]
	s_cbranch_scc0 .LBB22_257
; %bb.77:
	s_load_dword s4, s[4:5], 0x80
	s_mul_i32 s14, s69, s52
	s_mul_hi_i32 s13, s69, s52
	s_mul_hi_u32 s15, s14, s7
	s_mul_i32 s13, s13, s7
	s_waitcnt lgkmcnt(0)
	s_add_i32 s5, s4, -1
	s_cmp_lt_u32 s5, 16
	s_cselect_b32 s71, s4, 16
	s_add_i32 s4, s69, -1
	s_add_i32 s72, s68, 1
	s_and_b32 s4, s69, s4
	s_cmp_lg_u32 s4, 0
	s_cselect_b64 s[50:51], -1, 0
	s_ashr_i32 s12, s7, 31
	s_mul_i32 s12, s14, s12
	s_add_i32 s12, s15, s12
	v_mbcnt_lo_u32_b32 v1, -1, 0
	s_ashr_i32 s5, s52, 31
	s_add_i32 s12, s12, s13
	s_mul_i32 s14, s14, s7
	v_mbcnt_hi_u32_b32 v1, -1, v1
	s_add_u32 s10, s14, s10
	v_lshlrev_b32_e32 v3, 2, v1
	v_lshlrev_b32_e32 v4, 5, v38
	s_addc_u32 s11, s12, s11
	v_and_b32_e32 v46, 0x1c0, v3
	v_lshlrev_b32_e32 v3, 1, v39
	v_or_b32_e32 v5, 0x800, v4
	v_lshlrev_b32_e32 v6, 1, v42
	s_lshl_b64 s[10:11], s[10:11], 1
	v_or_b32_e32 v47, v5, v3
	v_add_u32_e32 v48, v5, v6
	v_lshlrev_b32_e32 v5, 5, v0
	s_add_u32 s12, s40, s10
	v_or_b32_e32 v7, 0x600, v5
	s_addc_u32 s13, s41, s11
	v_add_u32_e32 v7, 0x800, v7
	v_lshlrev_b32_e32 v51, 1, v0
	s_add_u32 s10, s42, s10
	v_or_b32_e32 v49, v7, v3
	v_add_u32_e32 v50, v7, v6
	v_mov_b32_e32 v7, s13
	v_add_co_u32_e32 v52, vcc, s12, v51
	s_addc_u32 s11, s43, s11
	v_addc_co_u32_e32 v53, vcc, 0, v7, vcc
	v_mov_b32_e32 v7, s11
	v_add_co_u32_e32 v54, vcc, s10, v51
	v_lshlrev_b32_e32 v8, 1, v40
	v_and_b32_e32 v2, 15, v1
	v_addc_co_u32_e32 v55, vcc, 0, v7, vcc
	v_lshlrev_b32_e32 v7, 7, v38
	v_or_b32_e32 v9, 38, v8
	v_add_u32_e32 v58, v7, v9
	v_or_b32_e32 v9, 0x46, v8
	v_or_b32_e32 v8, 0x66, v8
	v_cmp_gt_u32_e32 vcc, 8, v2
	v_or_b32_e32 v56, v7, v3
	v_add_u32_e32 v57, v7, v6
	v_add_u32_e32 v59, v7, v9
	;; [unrolled: 1-line block ×3, first 2 shown]
	v_cndmask_b32_e64 v7, 0, 1, vcc
	s_mov_b32 s4, s52
	s_ashr_i32 s7, s6, 31
	v_lshlrev_b32_e32 v7, 3, v7
	v_cmp_gt_u32_e32 vcc, 12, v2
	s_lshl_b64 s[58:59], s[6:7], 7
	s_lshl_b64 s[60:61], s[4:5], 1
	v_add_lshl_u32 v61, v7, v1, 2
	v_cndmask_b32_e64 v7, 0, 1, vcc
	s_cmp_lg_u32 s8, 0
	v_lshlrev_b32_e32 v7, 2, v7
	v_cmp_gt_u32_e32 vcc, 14, v2
	s_cselect_b64 s[62:63], -1, 0
	s_ashr_i32 s4, s9, 31
	v_add_lshl_u32 v62, v7, v1, 2
	v_cndmask_b32_e64 v7, 0, 1, vcc
	s_mul_hi_u32 s5, s68, s9
	s_mul_i32 s4, s68, s4
	v_lshlrev_b32_e32 v7, 1, v7
	v_cmp_ne_u32_e32 vcc, 15, v2
	s_add_i32 s5, s5, s4
	s_mul_i32 s4, s68, s9
	v_add_lshl_u32 v63, v7, v1, 2
	v_addc_co_u32_e32 v1, vcc, 0, v1, vcc
	s_add_i32 s52, s69, 0x7fffffff
	s_lshl_b64 s[4:5], s[4:5], 2
	v_lshlrev_b32_e32 v64, 2, v1
	v_lshlrev_b32_e32 v1, 2, v40
	s_add_u32 s73, s44, s4
	s_movk_i32 s4, 0x100
	v_add_u32_e32 v65, 0x1200, v1
	v_add_u32_e32 v66, 0x1280, v1
	v_lshlrev_b32_e32 v1, 2, v42
	v_cmp_gt_u32_e64 s[8:9], s4, v0
	v_add_u32_e32 v67, 0x1280, v1
	v_add_u32_e32 v68, 0x1300, v1
	;; [unrolled: 1-line block ×5, first 2 shown]
	v_lshlrev_b32_e32 v1, 1, v38
	v_lshlrev_b32_e32 v2, 5, v39
	s_movk_i32 s4, 0x1000
	s_addc_u32 s74, s45, s5
	v_or3_b32 v72, v2, v1, s4
	v_lshl_or_b32 v1, v42, 5, v1
	s_abs_i32 s75, s69
	v_add_u32_e32 v73, 0x1000, v1
	v_cvt_f32_u32_e32 v1, s75
	v_or_b32_e32 v2, 0x1000, v4
	v_or_b32_e32 v74, v2, v3
	v_add_u32_e32 v75, v2, v6
	v_rcp_iflag_f32_e32 v2, v1
	s_sub_i32 s4, 0, s75
	v_mov_b32_e32 v45, 0x12c0
	v_mov_b32_e32 v78, 0
	v_mul_f32_e32 v2, 0x4f7ffffe, v2
	v_cvt_u32_f32_e32 v2, v2
	v_cmp_le_u32_e64 s[10:11], s53, v39
	v_cmp_gt_u32_e64 s[12:13], s70, v44
	v_cmp_le_u32_e64 s[14:15], s70, v44
	v_mul_lo_u32 v3, s4, v2
	v_mul_hi_u32 v3, v2, v3
	v_add_u32_e32 v76, v2, v3
	v_mov_b32_e32 v2, 0x800
	v_cmp_gt_u32_e64 s[16:17], s70, v43
	v_cmp_le_u32_e64 s[18:19], s70, v43
	v_cmp_gt_u32_e64 s[20:21], s70, v42
	v_cmp_le_u32_e64 s[22:23], s70, v42
	v_cmp_gt_u32_e64 s[24:25], 64, v0
	v_or_b32_e32 v1, 64, v0
	s_mov_b32 s76, s60
	s_mov_b32 s77, s61
	;; [unrolled: 1-line block ×4, first 2 shown]
	v_add_u32_e32 v77, 0x800, v5
	s_mov_b32 s78, 0x5040100
	s_mov_b32 s79, 0xff800000
	;; [unrolled: 1-line block ×3, first 2 shown]
	s_movk_i32 s81, 0x7fff
	s_mov_b32 s82, 0xffff
	v_lshl_add_u32 v79, v0, 5, v2
	s_mov_b32 s83, s72
	s_mov_b32 s84, 0
	;; [unrolled: 1-line block ×3, first 2 shown]
	v_mov_b32_e32 v10, 0
	v_mov_b32_e32 v11, v78
	;; [unrolled: 1-line block ×16, first 2 shown]
	v_lshl_or_b32 v80, v38, 2, v45
	v_or_b32_e32 v81, 0x1200, v41
	v_or_b32_e32 v82, 0x1280, v41
	;; [unrolled: 1-line block ×5, first 2 shown]
	v_mov_b32_e32 v31, 0
	s_branch .LBB22_79
.LBB22_78:                              ;   in Loop: Header=BB22_79 Depth=1
	s_or_b64 exec, exec, s[4:5]
	v_mul_f32_e32 v10, v10, v86
	v_mul_f32_e32 v11, v11, v87
	;; [unrolled: 1-line block ×16, first 2 shown]
	v_mfma_f32_16x16x16bf16_1k v[10:13], v[18:19], v[20:21], v[10:13]
	s_add_i32 s85, s85, s71
	s_add_i32 s84, s84, 1
	s_sub_i32 s83, s83, s71
	s_cmp_gt_i32 s85, s68
	s_barrier
	v_mfma_f32_16x16x16bf16_1k v[2:5], v[18:19], v[32:33], v[2:5]
	v_mfma_f32_16x16x16bf16_1k v[6:9], v[18:19], v[34:35], v[6:9]
	v_mfma_f32_16x16x16bf16_1k v[14:17], v[18:19], v[36:37], v[14:17]
	s_cbranch_scc1 .LBB22_257
.LBB22_79:                              ; =>This Loop Header: Depth=1
                                        ;     Child Loop BB22_96 Depth 2
                                        ;     Child Loop BB22_102 Depth 2
	s_sub_i32 s4, s72, s85
	s_min_i32 s86, s4, s71
	v_cmp_le_i32_e64 s[64:65], s86, v38
	v_cmp_gt_i32_e64 s[26:27], s86, v38
	v_add_u32_e32 v30, s85, v38
	s_mov_b64 s[6:7], 0
                                        ; implicit-def: $vgpr18
	s_and_saveexec_b64 s[4:5], s[26:27]
	s_xor_b64 s[4:5], exec, s[4:5]
	s_cbranch_execz .LBB22_85
; %bb.80:                               ;   in Loop: Header=BB22_79 Depth=1
	s_andn2_b64 vcc, exec, s[62:63]
	v_mov_b32_e32 v18, v30
	s_cbranch_vccnz .LBB22_89
; %bb.81:                               ;   in Loop: Header=BB22_79 Depth=1
	s_and_b64 vcc, exec, s[50:51]
	s_cbranch_vccz .LBB22_87
; %bb.82:                               ;   in Loop: Header=BB22_79 Depth=1
	v_cmp_le_i32_e32 vcc, s69, v30
	v_mov_b32_e32 v18, v30
	s_and_saveexec_b64 s[6:7], vcc
; %bb.83:                               ;   in Loop: Header=BB22_79 Depth=1
	v_mul_hi_u32 v18, v30, v76
	v_mul_lo_u32 v18, v18, s75
	v_sub_u32_e32 v18, v30, v18
	v_subrev_u32_e32 v19, s75, v18
	v_cmp_le_u32_e32 vcc, s75, v18
	v_cndmask_b32_e32 v18, v18, v19, vcc
	v_subrev_u32_e32 v19, s75, v18
	v_cmp_le_u32_e32 vcc, s75, v18
	v_cndmask_b32_e32 v18, v18, v19, vcc
; %bb.84:                               ;   in Loop: Header=BB22_79 Depth=1
	s_or_b64 exec, exec, s[6:7]
	s_cbranch_execz .LBB22_88
	s_branch .LBB22_89
.LBB22_85:                              ;   in Loop: Header=BB22_79 Depth=1
	s_andn2_saveexec_b64 s[4:5], s[4:5]
	s_cbranch_execz .LBB22_90
.LBB22_86:                              ;   in Loop: Header=BB22_79 Depth=1
	s_andn2_b64 s[6:7], s[6:7], exec
	s_and_b64 s[34:35], s[0:1], exec
	v_mov_b32_e32 v18, 0
	s_or_b64 s[6:7], s[6:7], s[34:35]
	s_or_b64 exec, exec, s[4:5]
	s_and_saveexec_b64 s[4:5], s[6:7]
	s_cbranch_execnz .LBB22_91
	s_branch .LBB22_92
.LBB22_87:                              ;   in Loop: Header=BB22_79 Depth=1
                                        ; implicit-def: $vgpr18
.LBB22_88:                              ;   in Loop: Header=BB22_79 Depth=1
	v_and_b32_e32 v18, s52, v30
.LBB22_89:                              ;   in Loop: Header=BB22_79 Depth=1
	s_and_b64 s[6:7], s[0:1], exec
	s_andn2_saveexec_b64 s[4:5], s[4:5]
	s_cbranch_execnz .LBB22_86
.LBB22_90:                              ;   in Loop: Header=BB22_79 Depth=1
	s_or_b64 exec, exec, s[4:5]
	s_and_saveexec_b64 s[4:5], s[6:7]
	s_cbranch_execz .LBB22_92
.LBB22_91:                              ;   in Loop: Header=BB22_79 Depth=1
	ds_write_b32 v80, v18
.LBB22_92:                              ;   in Loop: Header=BB22_79 Depth=1
	s_or_b64 exec, exec, s[4:5]
	s_min_i32 s87, s86, 16
	s_lshl_b32 s49, s87, 6
	v_cmp_gt_i32_e32 vcc, s49, v0
	s_waitcnt lgkmcnt(0)
	s_barrier
	s_and_saveexec_b64 s[66:67], vcc
	s_cbranch_execz .LBB22_103
; %bb.93:                               ;   in Loop: Header=BB22_79 Depth=1
	s_mul_i32 s4, s71, s84
	s_sub_i32 s4, s72, s4
	v_mov_b32_e32 v18, s4
	v_min3_i32 v18, s71, v18, 16
	v_readfirstlane_b32 s4, v18
	s_add_i32 s4, s4, -1
	s_and_b32 s88, s4, 0x3ffffff
	s_cmp_lg_u32 s88, 0
	s_cbranch_scc0 .LBB22_100
; %bb.94:                               ;   in Loop: Header=BB22_79 Depth=1
	s_add_i32 s89, s88, -1
	s_cmp_lt_u32 s89, 2
	v_pk_mov_b32 v[18:19], v[0:1], v[0:1] op_sel:[0,1]
	s_cbranch_scc1 .LBB22_97
; %bb.95:                               ;   in Loop: Header=BB22_79 Depth=1
	v_mov_b32_e32 v18, s83
	v_min3_i32 v18, s71, v18, 16
	v_readfirstlane_b32 s4, v18
	s_add_i32 s4, s4, -1
	s_and_b32 s4, s4, 0x3ffffff
	s_add_i32 s4, s4, -1
	s_lshr_b32 s4, s4, 1
	s_add_i32 s4, s4, 1
	s_and_b32 s90, s4, -2
	v_pk_mov_b32 v[18:19], v[0:1], v[0:1] op_sel:[0,1]
.LBB22_96:                              ;   Parent Loop BB22_79 Depth=1
                                        ; =>  This Inner Loop Header: Depth=2
	v_lshrrev_b32_e32 v94, 6, v18
	v_add_u32_e32 v34, 0x80, v18
	v_lshl_add_u32 v35, v94, 2, v45
	v_lshrrev_b32_e32 v95, 6, v34
	ds_read2_b32 v[34:35], v35 offset1:1
	v_lshl_add_u32 v36, v95, 2, v45
	ds_read2_b32 v[36:37], v36 offset1:1
	v_pk_mov_b32 v[20:21], s[44:45], s[44:45] op_sel:[0,1]
	v_pk_mov_b32 v[32:33], s[58:59], s[58:59] op_sel:[0,1]
	s_waitcnt lgkmcnt(1)
	v_ashrrev_i32_e32 v91, 31, v35
	v_ashrrev_i32_e32 v90, 31, v34
	v_mad_u64_u32 v[86:87], s[4:5], s76, v35, v[20:21]
	v_mul_lo_u32 v35, s77, v35
	v_mul_lo_u32 v91, s76, v91
	s_waitcnt lgkmcnt(0)
	v_ashrrev_i32_e32 v93, 31, v36
	v_ashrrev_i32_e32 v96, 31, v37
	v_mad_u64_u32 v[88:89], s[4:5], s60, v34, v[32:33]
	v_mul_lo_u32 v92, s61, v34
	v_mul_lo_u32 v90, s60, v90
	v_mad_u64_u32 v[20:21], s[4:5], s76, v37, v[20:21]
	v_mul_lo_u32 v97, s77, v37
	v_mad_u64_u32 v[32:33], s[4:5], s60, v36, v[32:33]
	v_mul_lo_u32 v98, s61, v36
	v_add3_u32 v87, v35, v87, v91
	v_mul_lo_u32 v91, s76, v96
	v_mul_lo_u32 v93, s60, v93
	v_add_co_u32_e32 v34, vcc, v52, v86
	v_add_co_u32_e64 v36, s[4:5], v54, v88
	v_add_co_u32_e64 v88, s[34:35], v52, v88
	v_add3_u32 v37, v92, v89, v90
	v_add_co_u32_e64 v90, s[36:37], v52, v32
	v_add_co_u32_e64 v92, s[38:39], v52, v20
	;; [unrolled: 1-line block ×4, first 2 shown]
	v_add3_u32 v21, v97, v21, v91
	v_add3_u32 v33, v98, v33, v93
	v_add_co_u32_e64 v86, s[6:7], v54, v86
	v_addc_co_u32_e64 v89, s[34:35], v53, v37, s[34:35]
	v_addc_co_u32_e32 v35, vcc, v53, v87, vcc
	v_addc_co_u32_e64 v91, vcc, v53, v33, s[36:37]
	v_addc_co_u32_e64 v93, vcc, v53, v21, s[38:39]
	;; [unrolled: 1-line block ×6, first 2 shown]
	global_load_ushort v88, v[88:89], off
	s_nop 0
	global_load_ushort v34, v[34:35], off
	s_nop 0
	;; [unrolled: 2-line block ×6, first 2 shown]
	global_load_ushort v21, v[90:91], off
	global_load_ushort v33, v[92:93], off
	v_lshlrev_b32_e32 v37, 1, v19
	s_add_i32 s90, s90, -2
	v_and_b32_e32 v87, 0xffffff80, v37
	v_add_u32_e32 v37, 0x100, v37
	v_add_u32_e32 v19, 0x100, v19
	;; [unrolled: 1-line block ×3, first 2 shown]
	v_lshl_add_u32 v86, v94, 7, v51
	s_cmp_lg_u32 s90, 0
	v_lshl_add_u32 v90, v95, 7, v51
	v_and_b32_e32 v37, 0xffffff80, v37
	v_lshl_add_u32 v89, v94, 1, v79
	v_add_u32_e32 v87, v87, v51
	v_lshl_add_u32 v91, v95, 1, v79
	v_add_u32_e32 v37, v37, v51
	s_waitcnt vmcnt(2)
	v_perm_b32 v20, v20, v32, s78
	v_perm_b32 v35, v36, v35, s78
	ds_write_b16 v86, v88
	ds_write_b16 v87, v34
	ds_write_b32 v89, v35
	s_waitcnt vmcnt(1)
	ds_write_b16 v90, v21
	s_waitcnt vmcnt(0)
	ds_write_b16 v37, v33
	ds_write_b32 v91, v20
	s_cbranch_scc1 .LBB22_96
.LBB22_97:                              ;   in Loop: Header=BB22_79 Depth=1
	s_bitcmp1_b32 s89, 1
	s_cbranch_scc1 .LBB22_99
; %bb.98:                               ;   in Loop: Header=BB22_79 Depth=1
	v_lshrrev_b32_e32 v18, 6, v18
	v_lshl_add_u32 v20, v18, 2, v45
	ds_read2_b32 v[20:21], v20 offset1:1
	v_mov_b32_e32 v32, s44
	v_mov_b32_e32 v33, s45
	v_lshlrev_b32_e32 v19, 1, v19
	v_and_b32_e32 v19, 0xffffff80, v19
	s_waitcnt lgkmcnt(0)
	v_ashrrev_i32_e32 v35, 31, v21
	v_ashrrev_i32_e32 v34, 31, v20
	v_mul_lo_u32 v35, s76, v35
	v_mad_u64_u32 v[32:33], s[4:5], s76, v21, v[32:33]
	v_mul_lo_u32 v21, s77, v21
	v_add3_u32 v33, v21, v33, v35
	v_mul_lo_u32 v21, s60, v34
	v_mov_b32_e32 v34, s58
	v_mov_b32_e32 v35, s59
	v_mad_u64_u32 v[34:35], s[4:5], s60, v20, v[34:35]
	v_mul_lo_u32 v20, s61, v20
	v_add3_u32 v35, v20, v35, v21
	v_add_co_u32_e32 v20, vcc, v52, v34
	v_addc_co_u32_e32 v21, vcc, v53, v35, vcc
	v_add_co_u32_e32 v36, vcc, v52, v32
	v_addc_co_u32_e32 v37, vcc, v53, v33, vcc
	;; [unrolled: 2-line block ×4, first 2 shown]
	global_load_ushort v34, v[34:35], off
	s_nop 0
	global_load_ushort v32, v[32:33], off
	s_nop 0
	;; [unrolled: 2-line block ×3, first 2 shown]
	global_load_ushort v21, v[36:37], off
	v_lshl_add_u32 v33, v18, 7, v51
	v_lshlrev_b32_e32 v18, 1, v18
	v_lshl_add_u32 v18, v0, 5, v18
	v_add_u32_e32 v19, v19, v51
	s_waitcnt vmcnt(1)
	ds_write_b16 v33, v20
	s_waitcnt vmcnt(0)
	ds_write_b16 v19, v21
	v_perm_b32 v32, v32, v34, s78
	ds_write_b32 v18, v32 offset:2048
.LBB22_99:                              ;   in Loop: Header=BB22_79 Depth=1
	s_add_i32 s88, s88, 1
	s_and_b32 s4, s88, 0x7fffffe
	s_cmp_lg_u32 s88, s4
	v_lshl_or_b32 v18, s4, 6, v0
	s_cselect_b64 s[4:5], -1, 0
	s_and_b64 vcc, exec, s[4:5]
	s_cbranch_vccnz .LBB22_101
	s_branch .LBB22_103
.LBB22_100:                             ;   in Loop: Header=BB22_79 Depth=1
	v_mov_b32_e32 v18, v0
	s_cbranch_execz .LBB22_103
.LBB22_101:                             ;   in Loop: Header=BB22_79 Depth=1
	v_lshrrev_b32_e32 v21, 6, v18
	v_lshl_add_u32 v19, v21, 1, v77
	v_lshl_add_u32 v20, v21, 7, v51
	;; [unrolled: 1-line block ×3, first 2 shown]
	s_mov_b64 s[6:7], 0
.LBB22_102:                             ;   Parent Loop BB22_79 Depth=1
                                        ; =>  This Inner Loop Header: Depth=2
	ds_read_b32 v34, v21
	v_pk_mov_b32 v[32:33], s[58:59], s[58:59] op_sel:[0,1]
	v_add_u32_e32 v18, 64, v18
	v_add_u32_e32 v21, 4, v21
	s_waitcnt lgkmcnt(0)
	v_ashrrev_i32_e32 v35, 31, v34
	v_mad_u64_u32 v[32:33], s[4:5], s60, v34, v[32:33]
	v_mul_lo_u32 v34, s61, v34
	v_mul_lo_u32 v35, s60, v35
	v_add3_u32 v35, v34, v33, v35
	v_add_co_u32_e32 v34, vcc, v54, v32
	v_add_co_u32_e64 v32, s[4:5], v52, v32
	v_addc_co_u32_e64 v33, s[4:5], v53, v35, s[4:5]
	v_addc_co_u32_e32 v35, vcc, v55, v35, vcc
	global_load_ushort v32, v[32:33], off
	s_nop 0
	global_load_ushort v33, v[34:35], off
	v_cmp_le_i32_e32 vcc, s49, v18
	s_or_b64 s[6:7], vcc, s[6:7]
	s_waitcnt vmcnt(1)
	ds_write_b16 v20, v32
	s_waitcnt vmcnt(0)
	ds_write_b16 v19, v33
	v_add_u32_e32 v19, 2, v19
	v_add_u32_e32 v20, 0x80, v20
	s_andn2_b64 exec, exec, s[6:7]
	s_cbranch_execnz .LBB22_102
.LBB22_103:                             ;   in Loop: Header=BB22_79 Depth=1
	s_or_b64 exec, exec, s[66:67]
	v_mov_b32_e32 v32, 0
	v_mov_b32_e32 v18, 0
	;; [unrolled: 1-line block ×3, first 2 shown]
	s_waitcnt lgkmcnt(0)
	s_barrier
	s_and_saveexec_b64 s[4:5], s[26:27]
	s_cbranch_execz .LBB22_107
; %bb.104:                              ;   in Loop: Header=BB22_79 Depth=1
	ds_read_u16 v19, v56 offset:4
	ds_read_b32 v18, v56
	s_waitcnt lgkmcnt(1)
	v_and_b32_e32 v19, 0xffff, v19
	s_and_saveexec_b64 s[6:7], s[8:9]
	s_cbranch_execz .LBB22_106
; %bb.105:                              ;   in Loop: Header=BB22_79 Depth=1
	ds_read_u16 v20, v57
	s_waitcnt lgkmcnt(0)
	v_perm_b32 v19, v20, v19, s78
.LBB22_106:                             ;   in Loop: Header=BB22_79 Depth=1
	s_or_b64 exec, exec, s[6:7]
.LBB22_107:                             ;   in Loop: Header=BB22_79 Depth=1
	s_or_b64 exec, exec, s[4:5]
	s_waitcnt lgkmcnt(0)
	v_mfma_f32_16x16x16bf16_1k v[18:21], v[22:23], v[18:19], 0
	v_mov_b32_e32 v33, 0
	s_and_saveexec_b64 s[4:5], s[26:27]
	s_cbranch_execz .LBB22_111
; %bb.108:                              ;   in Loop: Header=BB22_79 Depth=1
	ds_read_u16 v33, v56 offset:36
	ds_read_b32 v32, v56 offset:32
	s_waitcnt lgkmcnt(1)
	v_and_b32_e32 v33, 0xffff, v33
	s_and_saveexec_b64 s[6:7], s[8:9]
	s_cbranch_execz .LBB22_110
; %bb.109:                              ;   in Loop: Header=BB22_79 Depth=1
	ds_read_u16 v34, v58
	s_waitcnt lgkmcnt(0)
	v_perm_b32 v33, v34, v33, s78
.LBB22_110:                             ;   in Loop: Header=BB22_79 Depth=1
	s_or_b64 exec, exec, s[6:7]
.LBB22_111:                             ;   in Loop: Header=BB22_79 Depth=1
	s_or_b64 exec, exec, s[4:5]
	s_waitcnt lgkmcnt(0)
	v_mfma_f32_16x16x16bf16_1k v[18:21], v[24:25], v[32:33], v[18:21]
	v_mov_b32_e32 v34, 0
	v_mov_b32_e32 v36, 0
	;; [unrolled: 1-line block ×3, first 2 shown]
	s_and_saveexec_b64 s[4:5], s[26:27]
	s_cbranch_execz .LBB22_115
; %bb.112:                              ;   in Loop: Header=BB22_79 Depth=1
	ds_read_u16 v32, v56 offset:68
	ds_read_b32 v36, v56 offset:64
	s_waitcnt lgkmcnt(1)
	v_and_b32_e32 v37, 0xffff, v32
	s_and_saveexec_b64 s[6:7], s[8:9]
	s_cbranch_execz .LBB22_114
; %bb.113:                              ;   in Loop: Header=BB22_79 Depth=1
	ds_read_u16 v32, v59
	s_waitcnt lgkmcnt(0)
	v_perm_b32 v37, v32, v37, s78
.LBB22_114:                             ;   in Loop: Header=BB22_79 Depth=1
	s_or_b64 exec, exec, s[6:7]
.LBB22_115:                             ;   in Loop: Header=BB22_79 Depth=1
	s_or_b64 exec, exec, s[4:5]
	s_waitcnt lgkmcnt(0)
	v_mfma_f32_16x16x16bf16_1k v[18:21], v[26:27], v[36:37], v[18:21]
	v_mov_b32_e32 v35, 0
	s_and_saveexec_b64 s[4:5], s[26:27]
	s_cbranch_execz .LBB22_119
; %bb.116:                              ;   in Loop: Header=BB22_79 Depth=1
	ds_read_u16 v32, v56 offset:100
	ds_read_b32 v34, v56 offset:96
	s_waitcnt lgkmcnt(1)
	v_and_b32_e32 v35, 0xffff, v32
	s_and_saveexec_b64 s[6:7], s[8:9]
	s_cbranch_execz .LBB22_118
; %bb.117:                              ;   in Loop: Header=BB22_79 Depth=1
	ds_read_u16 v32, v60
	s_waitcnt lgkmcnt(0)
	v_perm_b32 v35, v32, v35, s78
.LBB22_118:                             ;   in Loop: Header=BB22_79 Depth=1
	s_or_b64 exec, exec, s[6:7]
.LBB22_119:                             ;   in Loop: Header=BB22_79 Depth=1
	s_or_b64 exec, exec, s[4:5]
	s_waitcnt lgkmcnt(0)
	v_mfma_f32_16x16x16bf16_1k v[18:21], v[28:29], v[34:35], v[18:21]
	v_mov_b32_e32 v36, 0
	s_and_saveexec_b64 s[4:5], s[26:27]
	s_cbranch_execz .LBB22_121
; %bb.120:                              ;   in Loop: Header=BB22_79 Depth=1
	v_lshlrev_b64 v[32:33], 2, v[30:31]
	v_mov_b32_e32 v30, s74
	v_add_co_u32_e32 v32, vcc, s73, v32
	v_addc_co_u32_e32 v33, vcc, v30, v33, vcc
	global_load_dword v36, v[32:33], off
.LBB22_121:                             ;   in Loop: Header=BB22_79 Depth=1
	s_or_b64 exec, exec, s[4:5]
	s_mov_b64 s[4:5], s[64:65]
                                        ; implicit-def: $vgpr32
	s_and_saveexec_b64 s[6:7], s[26:27]
	s_cbranch_execz .LBB22_123
; %bb.122:                              ;   in Loop: Header=BB22_79 Depth=1
	s_andn2_b64 s[4:5], s[64:65], exec
	s_and_b64 s[34:35], s[10:11], exec
	s_waitcnt vmcnt(0)
	s_nop 0
	v_add_f32_e32 v32, v36, v18
	s_or_b64 s[4:5], s[4:5], s[34:35]
	s_or_b64 exec, exec, s[6:7]
	s_and_saveexec_b64 s[6:7], s[4:5]
	s_branch .LBB22_124
.LBB22_123:                             ;   in Loop: Header=BB22_79 Depth=1
	s_or_b64 exec, exec, s[6:7]
	s_and_saveexec_b64 s[6:7], s[4:5]
.LBB22_124:                             ;   in Loop: Header=BB22_79 Depth=1
	v_mov_b32_e32 v32, 0xff800000
; %bb.125:                              ;   in Loop: Header=BB22_79 Depth=1
	s_or_b64 exec, exec, s[6:7]
	s_mov_b64 s[4:5], s[64:65]
                                        ; implicit-def: $vgpr18
	s_and_saveexec_b64 s[6:7], s[26:27]
	s_cbranch_execz .LBB22_127
; %bb.126:                              ;   in Loop: Header=BB22_79 Depth=1
	s_andn2_b64 s[4:5], s[64:65], exec
	s_and_b64 s[34:35], s[14:15], exec
	s_waitcnt vmcnt(0)
	v_add_f32_e32 v18, v36, v19
	s_or_b64 s[4:5], s[4:5], s[34:35]
	s_or_b64 exec, exec, s[6:7]
	s_and_saveexec_b64 s[6:7], s[4:5]
	s_branch .LBB22_128
.LBB22_127:                             ;   in Loop: Header=BB22_79 Depth=1
	s_or_b64 exec, exec, s[6:7]
	s_and_saveexec_b64 s[6:7], s[4:5]
.LBB22_128:                             ;   in Loop: Header=BB22_79 Depth=1
	v_mov_b32_e32 v18, 0xff800000
; %bb.129:                              ;   in Loop: Header=BB22_79 Depth=1
	s_or_b64 exec, exec, s[6:7]
	s_mov_b64 s[4:5], s[64:65]
                                        ; implicit-def: $vgpr33
	s_and_saveexec_b64 s[6:7], s[26:27]
	s_cbranch_execz .LBB22_131
; %bb.130:                              ;   in Loop: Header=BB22_79 Depth=1
	s_andn2_b64 s[4:5], s[64:65], exec
	s_and_b64 s[34:35], s[18:19], exec
	s_waitcnt vmcnt(0)
	v_add_f32_e32 v33, v36, v20
	s_or_b64 s[4:5], s[4:5], s[34:35]
	s_or_b64 exec, exec, s[6:7]
	s_and_saveexec_b64 s[6:7], s[4:5]
	s_branch .LBB22_132
.LBB22_131:                             ;   in Loop: Header=BB22_79 Depth=1
	s_or_b64 exec, exec, s[6:7]
	s_and_saveexec_b64 s[6:7], s[4:5]
.LBB22_132:                             ;   in Loop: Header=BB22_79 Depth=1
	v_mov_b32_e32 v33, 0xff800000
; %bb.133:                              ;   in Loop: Header=BB22_79 Depth=1
	s_or_b64 exec, exec, s[6:7]
	s_mov_b64 s[4:5], s[64:65]
                                        ; implicit-def: $vgpr30
	s_and_saveexec_b64 s[6:7], s[26:27]
	s_cbranch_execz .LBB22_135
; %bb.134:                              ;   in Loop: Header=BB22_79 Depth=1
	s_andn2_b64 s[4:5], s[64:65], exec
	s_and_b64 s[34:35], s[22:23], exec
	s_waitcnt vmcnt(0)
	v_add_f32_e32 v30, v36, v21
	s_or_b64 s[4:5], s[4:5], s[34:35]
	s_or_b64 exec, exec, s[6:7]
	s_and_saveexec_b64 s[6:7], s[4:5]
	s_cbranch_execnz .LBB22_136
	s_branch .LBB22_137
.LBB22_135:                             ;   in Loop: Header=BB22_79 Depth=1
	s_or_b64 exec, exec, s[6:7]
	s_and_saveexec_b64 s[6:7], s[4:5]
.LBB22_136:                             ;   in Loop: Header=BB22_79 Depth=1
	v_mov_b32_e32 v30, 0xff800000
.LBB22_137:                             ;   in Loop: Header=BB22_79 Depth=1
	s_or_b64 exec, exec, s[6:7]
	ds_bpermute_b32 v19, v61, v32
	v_max_f32_e32 v20, v32, v32
	ds_bpermute_b32 v21, v61, v18
	v_max_f32_e32 v34, v18, v18
	ds_bpermute_b32 v35, v61, v33
	s_waitcnt lgkmcnt(2)
	v_max_f32_e32 v19, v19, v19
	v_max_f32_e32 v19, v20, v19
	ds_bpermute_b32 v20, v62, v19
	s_waitcnt lgkmcnt(2)
	v_max_f32_e32 v21, v21, v21
	v_max_f32_e32 v21, v34, v21
	ds_bpermute_b32 v34, v62, v21
	ds_bpermute_b32 v37, v61, v30
	s_waitcnt lgkmcnt(2)
	v_max_f32_e32 v20, v20, v20
	v_max_f32_e32 v19, v19, v20
	ds_bpermute_b32 v20, v63, v19
	s_waitcnt lgkmcnt(2)
	v_max_f32_e32 v34, v34, v34
	v_max_f32_e32 v21, v21, v34
	ds_bpermute_b32 v34, v63, v21
	s_waitcnt vmcnt(0)
	v_max_f32_e32 v36, v33, v33
	s_waitcnt lgkmcnt(1)
	v_max_f32_e32 v20, v20, v20
	v_max_f32_e32 v19, v19, v20
	ds_bpermute_b32 v20, v64, v19
	v_max_f32_e32 v35, v35, v35
	s_waitcnt lgkmcnt(1)
	v_max_f32_e32 v34, v34, v34
	v_max_f32_e32 v34, v21, v34
	ds_bpermute_b32 v86, v64, v34
	s_waitcnt lgkmcnt(1)
	v_max_f32_e32 v20, v20, v20
	v_max_f32_e32 v19, v19, v20
	ds_bpermute_b32 v21, v46, v19
	v_max_f32_e32 v19, v36, v35
	ds_bpermute_b32 v20, v62, v19
	v_max_f32_e32 v35, v37, v37
	v_max_f32_e32 v36, v30, v30
	;; [unrolled: 1-line block ×3, first 2 shown]
	ds_bpermute_b32 v36, v62, v35
	s_waitcnt lgkmcnt(1)
	v_max_f32_e32 v20, v20, v20
	v_max_f32_e32 v19, v19, v20
	ds_bpermute_b32 v20, v63, v19
	v_max_f32_e32 v37, v86, v86
	s_waitcnt lgkmcnt(1)
	v_max_f32_e32 v36, v36, v36
	v_max_f32_e32 v35, v35, v36
	ds_bpermute_b32 v36, v63, v35
	s_waitcnt lgkmcnt(1)
	v_max_f32_e32 v20, v20, v20
	v_max_f32_e32 v19, v19, v20
	ds_bpermute_b32 v20, v64, v19
	v_max_f32_e32 v34, v34, v37
	s_waitcnt lgkmcnt(1)
	v_max_f32_e32 v36, v36, v36
	v_max_f32_e32 v35, v35, v36
	ds_bpermute_b32 v36, v64, v35
	s_waitcnt lgkmcnt(1)
	v_max_f32_e32 v20, v20, v20
	v_max_f32_e32 v19, v19, v20
	ds_bpermute_b32 v20, v46, v19
	ds_bpermute_b32 v34, v46, v34
	s_waitcnt lgkmcnt(2)
	v_max_f32_e32 v19, v36, v36
	v_max_f32_e32 v19, v35, v19
	ds_bpermute_b32 v19, v46, v19
	s_and_saveexec_b64 s[4:5], s[28:29]
	s_cbranch_execz .LBB22_142
; %bb.138:                              ;   in Loop: Header=BB22_79 Depth=1
	ds_read_b32 v35, v82
	v_max_f32_e32 v21, v21, v21
	s_waitcnt lgkmcnt(0)
	ds_write_b32 v81, v35
	v_max_f32_e32 v35, v35, v35
	v_max_f32_e32 v21, v35, v21
	ds_write_b32 v82, v21
	s_and_saveexec_b64 s[6:7], s[24:25]
	s_cbranch_execz .LBB22_163
; %bb.139:                              ;   in Loop: Header=BB22_79 Depth=1
	ds_read_b32 v21, v66 offset:4
	v_max_f32_e32 v34, v34, v34
	s_waitcnt lgkmcnt(0)
	ds_write_b32 v65, v21 offset:4
	v_max_f32_e32 v21, v21, v21
	v_max_f32_e32 v21, v21, v34
	ds_write_b32 v66, v21 offset:4
	s_or_b64 exec, exec, s[6:7]
	s_and_saveexec_b64 s[6:7], s[24:25]
	s_cbranch_execnz .LBB22_164
.LBB22_140:                             ;   in Loop: Header=BB22_79 Depth=1
	s_or_b64 exec, exec, s[6:7]
	s_and_b64 exec, exec, s[24:25]
	s_cbranch_execz .LBB22_142
.LBB22_141:                             ;   in Loop: Header=BB22_79 Depth=1
	ds_read_b32 v20, v66 offset:12
	v_max_f32_e32 v19, v19, v19
	s_waitcnt lgkmcnt(0)
	ds_write_b32 v65, v20 offset:12
	v_max_f32_e32 v20, v20, v20
	v_max_f32_e32 v19, v20, v19
	ds_write_b32 v66, v19 offset:12
.LBB22_142:                             ;   in Loop: Header=BB22_79 Depth=1
	s_or_b64 exec, exec, s[4:5]
	s_waitcnt lgkmcnt(2)
	v_mov_b32_e32 v20, 0
	v_mov_b32_e32 v21, 0
	s_waitcnt lgkmcnt(0)
	s_barrier
	s_and_saveexec_b64 s[4:5], s[26:27]
	s_cbranch_execz .LBB22_144
; %bb.143:                              ;   in Loop: Header=BB22_79 Depth=1
	ds_read_b32 v19, v82
	s_waitcnt lgkmcnt(0)
	v_sub_f32_e32 v21, v32, v19
	v_mul_f32_e32 v21, 0x3fb8aa3b, v21
	v_exp_f32_e32 v21, v21
	v_cmp_lg_f32_e32 vcc, s79, v19
	s_and_b64 vcc, s[30:31], vcc
	v_cndmask_b32_e32 v21, 0, v21, vcc
.LBB22_144:                             ;   in Loop: Header=BB22_79 Depth=1
	s_or_b64 exec, exec, s[4:5]
	ds_bpermute_b32 v19, v61, v21
	s_waitcnt lgkmcnt(0)
	v_add_f32_e32 v19, v21, v19
	ds_bpermute_b32 v32, v62, v19
	s_waitcnt lgkmcnt(0)
	v_add_f32_e32 v19, v19, v32
	;; [unrolled: 3-line block ×4, first 2 shown]
	ds_bpermute_b32 v35, v46, v19
	s_and_saveexec_b64 s[4:5], s[26:27]
	s_cbranch_execz .LBB22_146
; %bb.145:                              ;   in Loop: Header=BB22_79 Depth=1
	ds_read_b32 v19, v82 offset:4
	s_waitcnt lgkmcnt(0)
	v_sub_f32_e32 v18, v18, v19
	v_mul_f32_e32 v18, 0x3fb8aa3b, v18
	v_exp_f32_e32 v18, v18
	v_cmp_lg_f32_e32 vcc, s79, v19
	s_and_b64 vcc, s[12:13], vcc
	v_cndmask_b32_e32 v20, 0, v18, vcc
.LBB22_146:                             ;   in Loop: Header=BB22_79 Depth=1
	s_or_b64 exec, exec, s[4:5]
	ds_bpermute_b32 v18, v61, v20
	s_waitcnt lgkmcnt(0)
	v_add_f32_e32 v18, v20, v18
	ds_bpermute_b32 v19, v62, v18
	s_waitcnt lgkmcnt(0)
	v_add_f32_e32 v18, v18, v19
	ds_bpermute_b32 v19, v63, v18
	s_waitcnt lgkmcnt(0)
	v_add_f32_e32 v18, v18, v19
	ds_bpermute_b32 v19, v64, v18
	s_waitcnt lgkmcnt(0)
	v_add_f32_e32 v18, v18, v19
	ds_bpermute_b32 v34, v46, v18
	v_mov_b32_e32 v19, 0
	s_and_saveexec_b64 s[4:5], s[26:27]
	s_cbranch_execz .LBB22_148
; %bb.147:                              ;   in Loop: Header=BB22_79 Depth=1
	ds_read_b32 v18, v82 offset:8
	s_waitcnt lgkmcnt(0)
	v_sub_f32_e32 v19, v33, v18
	v_mul_f32_e32 v19, 0x3fb8aa3b, v19
	v_exp_f32_e32 v19, v19
	v_cmp_lg_f32_e32 vcc, s79, v18
	s_and_b64 vcc, s[16:17], vcc
	v_cndmask_b32_e32 v19, 0, v19, vcc
.LBB22_148:                             ;   in Loop: Header=BB22_79 Depth=1
	s_or_b64 exec, exec, s[4:5]
	ds_bpermute_b32 v18, v61, v19
	v_mov_b32_e32 v33, 0xff800000
	s_waitcnt lgkmcnt(0)
	v_add_f32_e32 v18, v19, v18
	ds_bpermute_b32 v32, v62, v18
	s_waitcnt lgkmcnt(0)
	v_add_f32_e32 v18, v18, v32
	ds_bpermute_b32 v32, v63, v18
	;; [unrolled: 3-line block ×4, first 2 shown]
	s_and_saveexec_b64 s[4:5], s[24:25]
	s_cbranch_execz .LBB22_150
; %bb.149:                              ;   in Loop: Header=BB22_79 Depth=1
	ds_read_b32 v33, v67
.LBB22_150:                             ;   in Loop: Header=BB22_79 Depth=1
	s_or_b64 exec, exec, s[4:5]
	v_mov_b32_e32 v18, 0
	s_and_saveexec_b64 s[4:5], s[26:27]
	s_cbranch_execz .LBB22_152
; %bb.151:                              ;   in Loop: Header=BB22_79 Depth=1
	s_waitcnt lgkmcnt(0)
	v_sub_f32_e32 v18, v30, v33
	v_mul_f32_e32 v18, 0x3fb8aa3b, v18
	v_exp_f32_e32 v18, v18
	v_cmp_lg_f32_e32 vcc, s79, v33
	s_and_b64 vcc, s[20:21], vcc
	v_cndmask_b32_e32 v18, 0, v18, vcc
.LBB22_152:                             ;   in Loop: Header=BB22_79 Depth=1
	s_or_b64 exec, exec, s[4:5]
	ds_bpermute_b32 v30, v61, v18
	s_waitcnt lgkmcnt(0)
	v_add_f32_e32 v30, v18, v30
	ds_bpermute_b32 v33, v62, v30
	s_waitcnt lgkmcnt(0)
	v_add_f32_e32 v30, v30, v33
	;; [unrolled: 3-line block ×4, first 2 shown]
	ds_bpermute_b32 v30, v46, v30
	s_and_saveexec_b64 s[6:7], s[28:29]
	s_cbranch_execz .LBB22_181
; %bb.153:                              ;   in Loop: Header=BB22_79 Depth=1
	s_and_saveexec_b64 s[4:5], s[10:11]
	s_xor_b64 s[4:5], exec, s[4:5]
	s_cbranch_execz .LBB22_165
; %bb.154:                              ;   in Loop: Header=BB22_79 Depth=1
	ds_write_b32 v84, v31
	ds_write_b32 v83, v31
                                        ; implicit-def: $vgpr35
	s_andn2_saveexec_b64 s[26:27], s[4:5]
	s_cbranch_execnz .LBB22_166
.LBB22_155:                             ;   in Loop: Header=BB22_79 Depth=1
	s_or_b64 exec, exec, s[26:27]
	s_and_saveexec_b64 s[4:5], s[14:15]
	s_xor_b64 s[4:5], exec, s[4:5]
	s_cbranch_execz .LBB22_169
.LBB22_156:                             ;   in Loop: Header=BB22_79 Depth=1
	ds_write_b32 v84, v31 offset:4
	ds_write_b32 v83, v31 offset:4
                                        ; implicit-def: $vgpr34
	s_andn2_saveexec_b64 s[26:27], s[4:5]
	s_cbranch_execnz .LBB22_170
.LBB22_157:                             ;   in Loop: Header=BB22_79 Depth=1
	s_or_b64 exec, exec, s[26:27]
	s_and_saveexec_b64 s[4:5], s[18:19]
	s_xor_b64 s[4:5], exec, s[4:5]
	s_cbranch_execz .LBB22_173
.LBB22_158:                             ;   in Loop: Header=BB22_79 Depth=1
	ds_write_b32 v84, v31 offset:8
	ds_write_b32 v83, v31 offset:8
                                        ; implicit-def: $vgpr32
	s_andn2_saveexec_b64 s[26:27], s[4:5]
	s_cbranch_execnz .LBB22_174
.LBB22_159:                             ;   in Loop: Header=BB22_79 Depth=1
	s_or_b64 exec, exec, s[26:27]
	s_and_saveexec_b64 s[4:5], s[22:23]
	s_xor_b64 s[4:5], exec, s[4:5]
	s_cbranch_execz .LBB22_177
.LBB22_160:                             ;   in Loop: Header=BB22_79 Depth=1
	s_and_saveexec_b64 s[26:27], s[24:25]
	s_cbranch_execz .LBB22_162
; %bb.161:                              ;   in Loop: Header=BB22_79 Depth=1
	ds_write_b32 v69, v31
	ds_write_b32 v68, v31
.LBB22_162:                             ;   in Loop: Header=BB22_79 Depth=1
	s_or_b64 exec, exec, s[26:27]
                                        ; implicit-def: $vgpr30
	s_andn2_saveexec_b64 s[4:5], s[4:5]
	s_cbranch_execz .LBB22_181
	s_branch .LBB22_178
.LBB22_163:                             ;   in Loop: Header=BB22_79 Depth=1
	s_or_b64 exec, exec, s[6:7]
	s_and_saveexec_b64 s[6:7], s[24:25]
	s_cbranch_execz .LBB22_140
.LBB22_164:                             ;   in Loop: Header=BB22_79 Depth=1
	ds_read_b32 v21, v66 offset:8
	v_max_f32_e32 v20, v20, v20
	s_waitcnt lgkmcnt(0)
	ds_write_b32 v65, v21 offset:8
	v_max_f32_e32 v21, v21, v21
	v_max_f32_e32 v20, v21, v20
	ds_write_b32 v66, v20 offset:8
	s_or_b64 exec, exec, s[6:7]
	s_and_b64 exec, exec, s[24:25]
	s_cbranch_execnz .LBB22_141
	s_branch .LBB22_142
.LBB22_165:                             ;   in Loop: Header=BB22_79 Depth=1
	s_andn2_saveexec_b64 s[26:27], s[4:5]
	s_cbranch_execz .LBB22_155
.LBB22_166:                             ;   in Loop: Header=BB22_79 Depth=1
	ds_read_b32 v37, v81
	ds_read_b32 v33, v85
	v_mov_b32_e32 v36, 0
	s_waitcnt lgkmcnt(1)
	v_cmp_neq_f32_e32 vcc, s79, v37
	s_and_saveexec_b64 s[4:5], vcc
	s_cbranch_execz .LBB22_168
; %bb.167:                              ;   in Loop: Header=BB22_79 Depth=1
	ds_read_b32 v36, v82
	s_waitcnt lgkmcnt(0)
	v_sub_f32_e32 v36, v37, v36
	v_mul_f32_e32 v36, 0x3fb8aa3b, v36
	v_exp_f32_e32 v36, v36
.LBB22_168:                             ;   in Loop: Header=BB22_79 Depth=1
	s_or_b64 exec, exec, s[4:5]
	s_waitcnt lgkmcnt(0)
	v_mul_f32_e32 v37, v33, v36
	v_fmac_f32_e32 v35, v33, v36
	v_div_scale_f32 v33, s[4:5], v35, v35, v37
	v_rcp_f32_e32 v36, v33
	v_fma_f32 v86, -v33, v36, 1.0
	v_fmac_f32_e32 v36, v86, v36
	v_div_scale_f32 v86, vcc, v37, v35, v37
	v_mul_f32_e32 v87, v86, v36
	v_fma_f32 v88, -v33, v87, v86
	v_fmac_f32_e32 v87, v88, v36
	v_fma_f32 v33, -v33, v87, v86
	v_div_fmas_f32 v33, v33, v36, v87
	v_div_scale_f32 v36, s[4:5], v35, v35, 1.0
	v_rcp_f32_e32 v86, v36
	v_div_fixup_f32 v33, v33, v35, v37
	v_cmp_lt_f32_e64 s[4:5], 0, v35
	v_cndmask_b32_e64 v33, 0, v33, s[4:5]
	v_fma_f32 v37, -v36, v86, 1.0
	v_fmac_f32_e32 v86, v37, v86
	v_div_scale_f32 v37, vcc, 1.0, v35, 1.0
	v_mul_f32_e32 v87, v37, v86
	v_fma_f32 v88, -v36, v87, v37
	v_fmac_f32_e32 v87, v88, v86
	v_fma_f32 v36, -v36, v87, v37
	v_div_fmas_f32 v36, v36, v86, v87
	v_div_fixup_f32 v36, v36, v35, 1.0
	v_cndmask_b32_e64 v36, 0, v36, s[4:5]
	ds_write_b32 v84, v33
	ds_write_b32 v83, v36
	;; [unrolled: 1-line block ×3, first 2 shown]
	s_or_b64 exec, exec, s[26:27]
	s_and_saveexec_b64 s[4:5], s[14:15]
	s_xor_b64 s[4:5], exec, s[4:5]
	s_cbranch_execnz .LBB22_156
.LBB22_169:                             ;   in Loop: Header=BB22_79 Depth=1
	s_andn2_saveexec_b64 s[26:27], s[4:5]
	s_cbranch_execz .LBB22_157
.LBB22_170:                             ;   in Loop: Header=BB22_79 Depth=1
	ds_read_b32 v36, v81 offset:4
	ds_read_b32 v33, v85 offset:4
	v_mov_b32_e32 v35, 0
	s_waitcnt lgkmcnt(1)
	v_cmp_neq_f32_e32 vcc, s79, v36
	s_and_saveexec_b64 s[4:5], vcc
	s_cbranch_execz .LBB22_172
; %bb.171:                              ;   in Loop: Header=BB22_79 Depth=1
	ds_read_b32 v35, v82 offset:4
	s_waitcnt lgkmcnt(0)
	v_sub_f32_e32 v35, v36, v35
	v_mul_f32_e32 v35, 0x3fb8aa3b, v35
	v_exp_f32_e32 v35, v35
.LBB22_172:                             ;   in Loop: Header=BB22_79 Depth=1
	s_or_b64 exec, exec, s[4:5]
	s_waitcnt lgkmcnt(0)
	v_mul_f32_e32 v36, v33, v35
	v_fmac_f32_e32 v34, v33, v35
	v_div_scale_f32 v33, s[4:5], v34, v34, v36
	v_rcp_f32_e32 v35, v33
	v_fma_f32 v37, -v33, v35, 1.0
	v_fmac_f32_e32 v35, v37, v35
	v_div_scale_f32 v37, vcc, v36, v34, v36
	v_mul_f32_e32 v86, v37, v35
	v_fma_f32 v87, -v33, v86, v37
	v_fmac_f32_e32 v86, v87, v35
	v_fma_f32 v33, -v33, v86, v37
	v_div_fmas_f32 v33, v33, v35, v86
	v_div_scale_f32 v35, s[4:5], v34, v34, 1.0
	v_rcp_f32_e32 v37, v35
	v_div_fixup_f32 v33, v33, v34, v36
	v_cmp_lt_f32_e64 s[4:5], 0, v34
	v_cndmask_b32_e64 v33, 0, v33, s[4:5]
	v_fma_f32 v36, -v35, v37, 1.0
	v_fmac_f32_e32 v37, v36, v37
	v_div_scale_f32 v36, vcc, 1.0, v34, 1.0
	v_mul_f32_e32 v86, v36, v37
	v_fma_f32 v87, -v35, v86, v36
	v_fmac_f32_e32 v86, v87, v37
	v_fma_f32 v35, -v35, v86, v36
	v_div_fmas_f32 v35, v35, v37, v86
	v_div_fixup_f32 v35, v35, v34, 1.0
	v_cndmask_b32_e64 v35, 0, v35, s[4:5]
	ds_write_b32 v84, v33 offset:4
	ds_write_b32 v83, v35 offset:4
	;; [unrolled: 1-line block ×3, first 2 shown]
	s_or_b64 exec, exec, s[26:27]
	s_and_saveexec_b64 s[4:5], s[18:19]
	s_xor_b64 s[4:5], exec, s[4:5]
	s_cbranch_execnz .LBB22_158
.LBB22_173:                             ;   in Loop: Header=BB22_79 Depth=1
	s_andn2_saveexec_b64 s[26:27], s[4:5]
	s_cbranch_execz .LBB22_159
.LBB22_174:                             ;   in Loop: Header=BB22_79 Depth=1
	ds_read_b32 v35, v81 offset:8
	ds_read_b32 v33, v85 offset:8
	v_mov_b32_e32 v34, 0
	s_waitcnt lgkmcnt(1)
	v_cmp_neq_f32_e32 vcc, s79, v35
	s_and_saveexec_b64 s[4:5], vcc
	s_cbranch_execz .LBB22_176
; %bb.175:                              ;   in Loop: Header=BB22_79 Depth=1
	ds_read_b32 v34, v82 offset:8
	s_waitcnt lgkmcnt(0)
	v_sub_f32_e32 v34, v35, v34
	v_mul_f32_e32 v34, 0x3fb8aa3b, v34
	v_exp_f32_e32 v34, v34
.LBB22_176:                             ;   in Loop: Header=BB22_79 Depth=1
	s_or_b64 exec, exec, s[4:5]
	s_waitcnt lgkmcnt(0)
	v_mul_f32_e32 v35, v33, v34
	v_fmac_f32_e32 v32, v33, v34
	v_div_scale_f32 v33, s[4:5], v32, v32, v35
	v_rcp_f32_e32 v34, v33
	v_fma_f32 v36, -v33, v34, 1.0
	v_fmac_f32_e32 v34, v36, v34
	v_div_scale_f32 v36, vcc, v35, v32, v35
	v_mul_f32_e32 v37, v36, v34
	v_fma_f32 v86, -v33, v37, v36
	v_fmac_f32_e32 v37, v86, v34
	v_fma_f32 v33, -v33, v37, v36
	v_div_fmas_f32 v33, v33, v34, v37
	v_div_scale_f32 v34, s[4:5], v32, v32, 1.0
	v_rcp_f32_e32 v36, v34
	v_div_fixup_f32 v33, v33, v32, v35
	v_cmp_lt_f32_e64 s[4:5], 0, v32
	v_cndmask_b32_e64 v33, 0, v33, s[4:5]
	v_fma_f32 v35, -v34, v36, 1.0
	v_fmac_f32_e32 v36, v35, v36
	v_div_scale_f32 v35, vcc, 1.0, v32, 1.0
	v_mul_f32_e32 v37, v35, v36
	v_fma_f32 v86, -v34, v37, v35
	v_fmac_f32_e32 v37, v86, v36
	v_fma_f32 v34, -v34, v37, v35
	v_div_fmas_f32 v34, v34, v36, v37
	v_div_fixup_f32 v34, v34, v32, 1.0
	v_cndmask_b32_e64 v34, 0, v34, s[4:5]
	ds_write_b32 v84, v33 offset:8
	ds_write_b32 v83, v34 offset:8
	;; [unrolled: 1-line block ×3, first 2 shown]
	s_or_b64 exec, exec, s[26:27]
	s_and_saveexec_b64 s[4:5], s[22:23]
	s_xor_b64 s[4:5], exec, s[4:5]
	s_cbranch_execnz .LBB22_160
.LBB22_177:                             ;   in Loop: Header=BB22_79 Depth=1
	s_andn2_saveexec_b64 s[4:5], s[4:5]
	s_cbranch_execz .LBB22_181
.LBB22_178:                             ;   in Loop: Header=BB22_79 Depth=1
	ds_read_b32 v34, v70
	ds_read_b32 v32, v71
	v_mov_b32_e32 v33, 0
	s_waitcnt lgkmcnt(1)
	v_cmp_neq_f32_e32 vcc, s79, v34
	s_and_saveexec_b64 s[4:5], vcc
	s_cbranch_execz .LBB22_180
; %bb.179:                              ;   in Loop: Header=BB22_79 Depth=1
	ds_read_b32 v33, v67
	s_waitcnt lgkmcnt(0)
	v_sub_f32_e32 v33, v34, v33
	v_mul_f32_e32 v33, 0x3fb8aa3b, v33
	v_exp_f32_e32 v33, v33
.LBB22_180:                             ;   in Loop: Header=BB22_79 Depth=1
	s_or_b64 exec, exec, s[4:5]
	s_waitcnt lgkmcnt(0)
	v_mul_f32_e32 v34, v32, v33
	v_fmac_f32_e32 v30, v32, v33
	v_div_scale_f32 v32, s[4:5], v30, v30, v34
	v_rcp_f32_e32 v33, v32
	v_fma_f32 v35, -v32, v33, 1.0
	v_fmac_f32_e32 v33, v35, v33
	v_div_scale_f32 v35, vcc, v34, v30, v34
	v_mul_f32_e32 v36, v35, v33
	v_fma_f32 v37, -v32, v36, v35
	v_fmac_f32_e32 v36, v37, v33
	v_fma_f32 v32, -v32, v36, v35
	v_div_fmas_f32 v32, v32, v33, v36
	v_div_scale_f32 v33, s[4:5], v30, v30, 1.0
	v_rcp_f32_e32 v35, v33
	v_div_fixup_f32 v32, v32, v30, v34
	v_cmp_lt_f32_e64 s[4:5], 0, v30
	v_cndmask_b32_e64 v32, 0, v32, s[4:5]
	v_fma_f32 v34, -v33, v35, 1.0
	v_fmac_f32_e32 v35, v34, v35
	v_div_scale_f32 v34, vcc, 1.0, v30, 1.0
	v_mul_f32_e32 v36, v34, v35
	v_fma_f32 v37, -v33, v36, v34
	v_fmac_f32_e32 v36, v37, v35
	v_fma_f32 v33, -v33, v36, v34
	v_div_fmas_f32 v33, v33, v35, v36
	v_div_fixup_f32 v33, v33, v30, 1.0
	v_cndmask_b32_e64 v33, 0, v33, s[4:5]
	ds_write_b32 v69, v32
	ds_write_b32 v68, v33
	;; [unrolled: 1-line block ×3, first 2 shown]
.LBB22_181:                             ;   in Loop: Header=BB22_79 Depth=1
	s_or_b64 exec, exec, s[6:7]
	s_waitcnt lgkmcnt(0)
	v_mov_b32_e32 v30, 0
	v_mov_b32_e32 v86, 0
	s_barrier
	s_and_saveexec_b64 s[4:5], s[30:31]
	s_cbranch_execz .LBB22_183
; %bb.182:                              ;   in Loop: Header=BB22_79 Depth=1
	ds_read_b32 v86, v84
.LBB22_183:                             ;   in Loop: Header=BB22_79 Depth=1
	s_or_b64 exec, exec, s[4:5]
	s_or_b64 s[4:5], s[64:65], s[10:11]
	s_xor_b64 s[6:7], s[4:5], -1
	s_and_saveexec_b64 s[4:5], s[6:7]
	s_cbranch_execz .LBB22_185
; %bb.184:                              ;   in Loop: Header=BB22_79 Depth=1
	ds_read_b32 v30, v83
	s_waitcnt lgkmcnt(0)
	v_mul_f32_e32 v30, v21, v30
.LBB22_185:                             ;   in Loop: Header=BB22_79 Depth=1
	s_or_b64 exec, exec, s[4:5]
	v_and_b32_e32 v21, 0x7f800000, v30
	v_cmp_ne_u32_e32 vcc, s80, v21
                                        ; implicit-def: $vgpr21
	s_and_saveexec_b64 s[4:5], vcc
	s_xor_b64 s[4:5], exec, s[4:5]
; %bb.186:                              ;   in Loop: Header=BB22_79 Depth=1
	v_bfe_u32 v21, v30, 16, 1
	v_add3_u32 v21, v30, v21, s81
                                        ; implicit-def: $vgpr30
; %bb.187:                              ;   in Loop: Header=BB22_79 Depth=1
	s_andn2_saveexec_b64 s[4:5], s[4:5]
; %bb.188:                              ;   in Loop: Header=BB22_79 Depth=1
	v_or_b32_e32 v21, 0x10000, v30
	v_cmp_eq_u32_sdwa vcc, v30, v78 src0_sel:WORD_0 src1_sel:DWORD
	v_cndmask_b32_e32 v21, v21, v30, vcc
; %bb.189:                              ;   in Loop: Header=BB22_79 Depth=1
	s_or_b64 exec, exec, s[4:5]
	ds_write_b16_d16_hi v72, v21
	v_mov_b32_e32 v21, 0
	v_mov_b32_e32 v87, 0
	s_and_saveexec_b64 s[4:5], s[12:13]
	s_cbranch_execz .LBB22_191
; %bb.190:                              ;   in Loop: Header=BB22_79 Depth=1
	ds_read_b32 v87, v84 offset:4
.LBB22_191:                             ;   in Loop: Header=BB22_79 Depth=1
	s_or_b64 exec, exec, s[4:5]
	s_or_b64 s[4:5], s[64:65], s[14:15]
	s_xor_b64 s[6:7], s[4:5], -1
	s_and_saveexec_b64 s[4:5], s[6:7]
	s_cbranch_execz .LBB22_193
; %bb.192:                              ;   in Loop: Header=BB22_79 Depth=1
	ds_read_b32 v21, v83 offset:4
	s_waitcnt lgkmcnt(0)
	v_mul_f32_e32 v21, v20, v21
.LBB22_193:                             ;   in Loop: Header=BB22_79 Depth=1
	s_or_b64 exec, exec, s[4:5]
	v_and_b32_e32 v20, 0x7f800000, v21
	v_cmp_ne_u32_e32 vcc, s80, v20
                                        ; implicit-def: $vgpr20
	s_and_saveexec_b64 s[4:5], vcc
	s_xor_b64 s[4:5], exec, s[4:5]
; %bb.194:                              ;   in Loop: Header=BB22_79 Depth=1
	v_bfe_u32 v20, v21, 16, 1
	v_add3_u32 v20, v21, v20, s81
                                        ; implicit-def: $vgpr21
; %bb.195:                              ;   in Loop: Header=BB22_79 Depth=1
	s_andn2_saveexec_b64 s[4:5], s[4:5]
; %bb.196:                              ;   in Loop: Header=BB22_79 Depth=1
	v_or_b32_e32 v20, 0x10000, v21
	v_cmp_eq_u32_sdwa vcc, v21, v78 src0_sel:WORD_0 src1_sel:DWORD
	v_cndmask_b32_e32 v20, v20, v21, vcc
; %bb.197:                              ;   in Loop: Header=BB22_79 Depth=1
	s_or_b64 exec, exec, s[4:5]
	ds_write_b16_d16_hi v72, v20 offset:32
	v_mov_b32_e32 v20, 0
	v_mov_b32_e32 v88, 0
	s_and_saveexec_b64 s[4:5], s[16:17]
	s_cbranch_execz .LBB22_199
; %bb.198:                              ;   in Loop: Header=BB22_79 Depth=1
	ds_read_b32 v88, v84 offset:8
.LBB22_199:                             ;   in Loop: Header=BB22_79 Depth=1
	s_or_b64 exec, exec, s[4:5]
	s_or_b64 s[4:5], s[64:65], s[18:19]
	s_xor_b64 s[6:7], s[4:5], -1
	s_and_saveexec_b64 s[4:5], s[6:7]
	s_cbranch_execz .LBB22_201
; %bb.200:                              ;   in Loop: Header=BB22_79 Depth=1
	ds_read_b32 v20, v83 offset:8
	s_waitcnt lgkmcnt(0)
	v_mul_f32_e32 v20, v19, v20
.LBB22_201:                             ;   in Loop: Header=BB22_79 Depth=1
	s_or_b64 exec, exec, s[4:5]
	v_and_b32_e32 v19, 0x7f800000, v20
	v_cmp_ne_u32_e32 vcc, s80, v19
                                        ; implicit-def: $vgpr19
	s_and_saveexec_b64 s[4:5], vcc
	s_xor_b64 s[4:5], exec, s[4:5]
; %bb.202:                              ;   in Loop: Header=BB22_79 Depth=1
	v_bfe_u32 v19, v20, 16, 1
	v_add3_u32 v19, v20, v19, s81
                                        ; implicit-def: $vgpr20
; %bb.203:                              ;   in Loop: Header=BB22_79 Depth=1
	s_andn2_saveexec_b64 s[4:5], s[4:5]
; %bb.204:                              ;   in Loop: Header=BB22_79 Depth=1
	v_or_b32_e32 v19, 0x10000, v20
	v_cmp_eq_u32_sdwa vcc, v20, v78 src0_sel:WORD_0 src1_sel:DWORD
	v_cndmask_b32_e32 v19, v19, v20, vcc
; %bb.205:                              ;   in Loop: Header=BB22_79 Depth=1
	s_or_b64 exec, exec, s[4:5]
	ds_write_b16_d16_hi v72, v19 offset:64
	v_mov_b32_e32 v19, 0
	v_mov_b32_e32 v89, 0
	s_and_saveexec_b64 s[4:5], s[20:21]
	s_cbranch_execz .LBB22_207
; %bb.206:                              ;   in Loop: Header=BB22_79 Depth=1
	ds_read_b32 v89, v69
.LBB22_207:                             ;   in Loop: Header=BB22_79 Depth=1
	s_or_b64 exec, exec, s[4:5]
	s_or_b64 s[4:5], s[64:65], s[22:23]
	s_xor_b64 s[6:7], s[4:5], -1
	s_and_saveexec_b64 s[4:5], s[6:7]
	s_cbranch_execz .LBB22_209
; %bb.208:                              ;   in Loop: Header=BB22_79 Depth=1
	ds_read_b32 v19, v68
	s_waitcnt lgkmcnt(0)
	v_mul_f32_e32 v19, v18, v19
.LBB22_209:                             ;   in Loop: Header=BB22_79 Depth=1
	s_or_b64 exec, exec, s[4:5]
	s_and_saveexec_b64 s[4:5], s[24:25]
	s_cbranch_execz .LBB22_215
; %bb.210:                              ;   in Loop: Header=BB22_79 Depth=1
	v_and_b32_e32 v18, 0x7f800000, v19
	v_cmp_ne_u32_e32 vcc, s80, v18
                                        ; implicit-def: $vgpr18
	s_and_saveexec_b64 s[6:7], vcc
	s_xor_b64 s[6:7], exec, s[6:7]
; %bb.211:                              ;   in Loop: Header=BB22_79 Depth=1
	v_bfe_u32 v18, v19, 16, 1
	v_add3_u32 v18, v19, v18, s81
                                        ; implicit-def: $vgpr19
; %bb.212:                              ;   in Loop: Header=BB22_79 Depth=1
	s_andn2_saveexec_b64 s[6:7], s[6:7]
; %bb.213:                              ;   in Loop: Header=BB22_79 Depth=1
	v_or_b32_e32 v18, 0x10000, v19
	v_cmp_eq_u32_sdwa vcc, v19, v78 src0_sel:WORD_0 src1_sel:DWORD
	v_cndmask_b32_e32 v18, v18, v19, vcc
; %bb.214:                              ;   in Loop: Header=BB22_79 Depth=1
	s_or_b64 exec, exec, s[6:7]
	ds_write_b16_d16_hi v73, v18
.LBB22_215:                             ;   in Loop: Header=BB22_79 Depth=1
	s_or_b64 exec, exec, s[4:5]
	s_mov_b32 s49, s48
	v_pk_mov_b32 v[18:19], s[48:49], s[48:49] op_sel:[0,1]
	s_waitcnt lgkmcnt(0)
	s_barrier
	s_and_saveexec_b64 s[4:5], s[2:3]
	s_cbranch_execz .LBB22_225
; %bb.216:                              ;   in Loop: Header=BB22_79 Depth=1
	v_cmp_gt_i32_e32 vcc, s86, v39
	v_pk_mov_b32 v[18:19], s[48:49], s[48:49] op_sel:[0,1]
	s_and_saveexec_b64 s[6:7], vcc
	s_cbranch_execz .LBB22_220
; %bb.217:                              ;   in Loop: Header=BB22_79 Depth=1
	ds_read_u16 v18, v74
	s_waitcnt lgkmcnt(0)
	v_and_b32_e32 v30, 0xffff, v18
	v_pk_mov_b32 v[18:19], v[30:31], v[30:31] op_sel:[0,1]
	s_or_b64 exec, exec, s[6:7]
	v_cmp_gt_i32_e32 vcc, s87, v44
	s_and_saveexec_b64 s[6:7], vcc
	s_cbranch_execnz .LBB22_221
.LBB22_218:                             ;   in Loop: Header=BB22_79 Depth=1
	s_or_b64 exec, exec, s[6:7]
	v_cmp_gt_i32_e32 vcc, s87, v43
	s_and_saveexec_b64 s[6:7], vcc
	s_cbranch_execz .LBB22_222
.LBB22_219:                             ;   in Loop: Header=BB22_79 Depth=1
	ds_read_u16 v20, v74 offset:4
	s_waitcnt lgkmcnt(0)
	v_bfi_b32 v19, s82, v20, v19
	s_or_b64 exec, exec, s[6:7]
	v_cmp_gt_i32_e32 vcc, s87, v42
	s_and_saveexec_b64 s[6:7], vcc
	s_cbranch_execnz .LBB22_223
	s_branch .LBB22_224
.LBB22_220:                             ;   in Loop: Header=BB22_79 Depth=1
	s_or_b64 exec, exec, s[6:7]
	v_cmp_gt_i32_e32 vcc, s87, v44
	s_and_saveexec_b64 s[6:7], vcc
	s_cbranch_execz .LBB22_218
.LBB22_221:                             ;   in Loop: Header=BB22_79 Depth=1
	ds_read_u16 v20, v74 offset:2
	s_waitcnt lgkmcnt(0)
	v_perm_b32 v18, v20, v18, s78
	s_or_b64 exec, exec, s[6:7]
	v_cmp_gt_i32_e32 vcc, s87, v43
	s_and_saveexec_b64 s[6:7], vcc
	s_cbranch_execnz .LBB22_219
.LBB22_222:                             ;   in Loop: Header=BB22_79 Depth=1
	s_or_b64 exec, exec, s[6:7]
	v_cmp_gt_i32_e32 vcc, s87, v42
	s_and_saveexec_b64 s[6:7], vcc
	s_cbranch_execz .LBB22_224
.LBB22_223:                             ;   in Loop: Header=BB22_79 Depth=1
	ds_read_u16 v20, v75
	s_waitcnt lgkmcnt(0)
	v_perm_b32 v19, v20, v19, s78
.LBB22_224:                             ;   in Loop: Header=BB22_79 Depth=1
	s_or_b64 exec, exec, s[6:7]
.LBB22_225:                             ;   in Loop: Header=BB22_79 Depth=1
	s_or_b64 exec, exec, s[4:5]
	s_mov_b32 s49, s48
	v_cmp_gt_i32_e32 vcc, s86, v39
	v_pk_mov_b32 v[20:21], s[48:49], s[48:49] op_sel:[0,1]
	s_and_saveexec_b64 s[4:5], vcc
	s_cbranch_execz .LBB22_229
; %bb.226:                              ;   in Loop: Header=BB22_79 Depth=1
	ds_read_u16 v20, v47
	s_waitcnt lgkmcnt(0)
	v_and_b32_e32 v30, 0xffff, v20
	v_pk_mov_b32 v[20:21], v[30:31], v[30:31] op_sel:[0,1]
	s_or_b64 exec, exec, s[4:5]
	v_cmp_gt_i32_e64 s[4:5], s87, v44
	s_and_saveexec_b64 s[6:7], s[4:5]
	s_cbranch_execnz .LBB22_230
.LBB22_227:                             ;   in Loop: Header=BB22_79 Depth=1
	s_or_b64 exec, exec, s[6:7]
	v_cmp_gt_i32_e64 s[6:7], s87, v43
	s_and_saveexec_b64 s[26:27], s[6:7]
	s_cbranch_execz .LBB22_231
.LBB22_228:                             ;   in Loop: Header=BB22_79 Depth=1
	ds_read_u16 v30, v47 offset:4
	s_waitcnt lgkmcnt(0)
	v_bfi_b32 v21, s82, v30, v21
	s_or_b64 exec, exec, s[26:27]
	v_cmp_gt_i32_e64 s[26:27], s87, v42
	s_and_saveexec_b64 s[34:35], s[26:27]
	s_cbranch_execnz .LBB22_232
	s_branch .LBB22_233
.LBB22_229:                             ;   in Loop: Header=BB22_79 Depth=1
	s_or_b64 exec, exec, s[4:5]
	v_cmp_gt_i32_e64 s[4:5], s87, v44
	s_and_saveexec_b64 s[6:7], s[4:5]
	s_cbranch_execz .LBB22_227
.LBB22_230:                             ;   in Loop: Header=BB22_79 Depth=1
	ds_read_u16 v30, v47 offset:2
	s_waitcnt lgkmcnt(0)
	v_perm_b32 v20, v30, v20, s78
	s_or_b64 exec, exec, s[6:7]
	v_cmp_gt_i32_e64 s[6:7], s87, v43
	s_and_saveexec_b64 s[26:27], s[6:7]
	s_cbranch_execnz .LBB22_228
.LBB22_231:                             ;   in Loop: Header=BB22_79 Depth=1
	s_or_b64 exec, exec, s[26:27]
	v_cmp_gt_i32_e64 s[26:27], s87, v42
	s_and_saveexec_b64 s[34:35], s[26:27]
	s_cbranch_execz .LBB22_233
.LBB22_232:                             ;   in Loop: Header=BB22_79 Depth=1
	ds_read_u16 v30, v48
	s_waitcnt lgkmcnt(0)
	v_perm_b32 v21, v30, v21, s78
.LBB22_233:                             ;   in Loop: Header=BB22_79 Depth=1
	s_or_b64 exec, exec, s[34:35]
	s_mov_b32 s49, s48
	v_pk_mov_b32 v[32:33], s[48:49], s[48:49] op_sel:[0,1]
	s_and_saveexec_b64 s[34:35], vcc
	s_cbranch_execz .LBB22_237
; %bb.234:                              ;   in Loop: Header=BB22_79 Depth=1
	ds_read_u16 v30, v47 offset:512
	s_waitcnt lgkmcnt(0)
	v_and_b32_e32 v30, 0xffff, v30
	v_pk_mov_b32 v[32:33], v[30:31], v[30:31] op_sel:[0,1]
	s_or_b64 exec, exec, s[34:35]
	s_and_saveexec_b64 s[34:35], s[4:5]
	s_cbranch_execnz .LBB22_238
.LBB22_235:                             ;   in Loop: Header=BB22_79 Depth=1
	s_or_b64 exec, exec, s[34:35]
	s_and_saveexec_b64 s[34:35], s[6:7]
	s_cbranch_execz .LBB22_239
.LBB22_236:                             ;   in Loop: Header=BB22_79 Depth=1
	ds_read_u16 v30, v47 offset:516
	s_waitcnt lgkmcnt(0)
	v_bfi_b32 v33, s82, v30, v33
	s_or_b64 exec, exec, s[34:35]
	s_and_saveexec_b64 s[34:35], s[26:27]
	s_cbranch_execnz .LBB22_240
	s_branch .LBB22_241
.LBB22_237:                             ;   in Loop: Header=BB22_79 Depth=1
	s_or_b64 exec, exec, s[34:35]
	s_and_saveexec_b64 s[34:35], s[4:5]
	s_cbranch_execz .LBB22_235
.LBB22_238:                             ;   in Loop: Header=BB22_79 Depth=1
	ds_read_u16 v30, v47 offset:514
	s_waitcnt lgkmcnt(0)
	v_perm_b32 v32, v30, v32, s78
	s_or_b64 exec, exec, s[34:35]
	s_and_saveexec_b64 s[34:35], s[6:7]
	s_cbranch_execnz .LBB22_236
.LBB22_239:                             ;   in Loop: Header=BB22_79 Depth=1
	s_or_b64 exec, exec, s[34:35]
	s_and_saveexec_b64 s[34:35], s[26:27]
	s_cbranch_execz .LBB22_241
.LBB22_240:                             ;   in Loop: Header=BB22_79 Depth=1
	ds_read_u16 v30, v48 offset:512
	s_waitcnt lgkmcnt(0)
	v_perm_b32 v33, v30, v33, s78
.LBB22_241:                             ;   in Loop: Header=BB22_79 Depth=1
	s_or_b64 exec, exec, s[34:35]
	s_mov_b32 s49, s48
	v_pk_mov_b32 v[34:35], s[48:49], s[48:49] op_sel:[0,1]
	s_and_saveexec_b64 s[34:35], vcc
	s_cbranch_execz .LBB22_245
; %bb.242:                              ;   in Loop: Header=BB22_79 Depth=1
	ds_read_u16 v30, v47 offset:1024
	s_waitcnt lgkmcnt(0)
	v_and_b32_e32 v30, 0xffff, v30
	v_pk_mov_b32 v[34:35], v[30:31], v[30:31] op_sel:[0,1]
	s_or_b64 exec, exec, s[34:35]
	s_and_saveexec_b64 s[34:35], s[4:5]
	s_cbranch_execnz .LBB22_246
.LBB22_243:                             ;   in Loop: Header=BB22_79 Depth=1
	s_or_b64 exec, exec, s[34:35]
	s_and_saveexec_b64 s[34:35], s[6:7]
	s_cbranch_execz .LBB22_247
.LBB22_244:                             ;   in Loop: Header=BB22_79 Depth=1
	ds_read_u16 v30, v47 offset:1028
	s_waitcnt lgkmcnt(0)
	v_bfi_b32 v35, s82, v30, v35
	s_or_b64 exec, exec, s[34:35]
	s_and_saveexec_b64 s[34:35], s[26:27]
	s_cbranch_execnz .LBB22_248
	s_branch .LBB22_249
.LBB22_245:                             ;   in Loop: Header=BB22_79 Depth=1
	s_or_b64 exec, exec, s[34:35]
	s_and_saveexec_b64 s[34:35], s[4:5]
	s_cbranch_execz .LBB22_243
.LBB22_246:                             ;   in Loop: Header=BB22_79 Depth=1
	ds_read_u16 v30, v47 offset:1026
	s_waitcnt lgkmcnt(0)
	v_perm_b32 v34, v30, v34, s78
	s_or_b64 exec, exec, s[34:35]
	s_and_saveexec_b64 s[34:35], s[6:7]
	s_cbranch_execnz .LBB22_244
.LBB22_247:                             ;   in Loop: Header=BB22_79 Depth=1
	s_or_b64 exec, exec, s[34:35]
	s_and_saveexec_b64 s[34:35], s[26:27]
	s_cbranch_execz .LBB22_249
.LBB22_248:                             ;   in Loop: Header=BB22_79 Depth=1
	ds_read_u16 v30, v48 offset:1024
	s_waitcnt lgkmcnt(0)
	v_perm_b32 v35, v30, v35, s78
.LBB22_249:                             ;   in Loop: Header=BB22_79 Depth=1
	s_or_b64 exec, exec, s[34:35]
	s_mov_b32 s49, s48
	v_pk_mov_b32 v[36:37], s[48:49], s[48:49] op_sel:[0,1]
	s_and_saveexec_b64 s[34:35], vcc
	s_cbranch_execz .LBB22_253
; %bb.250:                              ;   in Loop: Header=BB22_79 Depth=1
	ds_read_u16 v30, v49
	s_waitcnt lgkmcnt(0)
	v_and_b32_e32 v30, 0xffff, v30
	v_pk_mov_b32 v[36:37], v[30:31], v[30:31] op_sel:[0,1]
	s_or_b64 exec, exec, s[34:35]
	s_and_saveexec_b64 s[34:35], s[4:5]
	s_cbranch_execnz .LBB22_254
.LBB22_251:                             ;   in Loop: Header=BB22_79 Depth=1
	s_or_b64 exec, exec, s[34:35]
	s_and_saveexec_b64 s[4:5], s[6:7]
	s_cbranch_execz .LBB22_255
.LBB22_252:                             ;   in Loop: Header=BB22_79 Depth=1
	ds_read_u16 v30, v49 offset:4
	s_waitcnt lgkmcnt(0)
	v_bfi_b32 v37, s82, v30, v37
	s_or_b64 exec, exec, s[4:5]
	s_and_saveexec_b64 s[4:5], s[26:27]
	s_cbranch_execz .LBB22_78
	s_branch .LBB22_256
.LBB22_253:                             ;   in Loop: Header=BB22_79 Depth=1
	s_or_b64 exec, exec, s[34:35]
	s_and_saveexec_b64 s[34:35], s[4:5]
	s_cbranch_execz .LBB22_251
.LBB22_254:                             ;   in Loop: Header=BB22_79 Depth=1
	ds_read_u16 v30, v49 offset:2
	s_waitcnt lgkmcnt(0)
	v_perm_b32 v36, v30, v36, s78
	s_or_b64 exec, exec, s[34:35]
	s_and_saveexec_b64 s[4:5], s[6:7]
	s_cbranch_execnz .LBB22_252
.LBB22_255:                             ;   in Loop: Header=BB22_79 Depth=1
	s_or_b64 exec, exec, s[4:5]
	s_and_saveexec_b64 s[4:5], s[26:27]
	s_cbranch_execz .LBB22_78
.LBB22_256:                             ;   in Loop: Header=BB22_79 Depth=1
	ds_read_u16 v30, v50
	s_waitcnt lgkmcnt(0)
	v_perm_b32 v37, v30, v37, s78
	s_branch .LBB22_78
.LBB22_257:
	s_cmp_lg_u64 s[46:47], 0
	s_cbranch_scc0 .LBB22_299
; %bb.258:
	v_cmp_eq_u32_e32 vcc, 0, v38
	s_and_saveexec_b64 s[0:1], vcc
	s_cbranch_execz .LBB22_296
; %bb.259:
	v_cmp_le_u32_e32 vcc, s53, v39
	s_and_saveexec_b64 s[2:3], vcc
	s_xor_b64 s[2:3], exec, s[2:3]
	s_cbranch_execz .LBB22_261
; %bb.260:
	v_mov_b32_e32 v1, 1.0
	ds_write_b32 v41, v1 offset:4928
.LBB22_261:
	s_andn2_saveexec_b64 s[2:3], s[2:3]
	s_cbranch_execz .LBB22_267
; %bb.262:
	v_add_u32_e32 v18, s33, v39
	v_ashrrev_i32_e32 v19, 31, v18
	v_lshlrev_b64 v[18:19], 1, v[18:19]
	v_mov_b32_e32 v1, s47
	v_add_co_u32_e32 v18, vcc, s46, v18
	v_addc_co_u32_e32 v19, vcc, v1, v19, vcc
	global_load_ushort v1, v[18:19], off
	s_movk_i32 s4, 0x1f8
	s_waitcnt vmcnt(0)
	v_lshlrev_b32_e32 v1, 16, v1
	v_cmp_class_f32_e64 s[4:5], v1, s4
	s_and_saveexec_b64 s[6:7], s[4:5]
	s_xor_b64 s[4:5], exec, s[6:7]
	s_cbranch_execz .LBB22_264
; %bb.263:
	v_add_u32_e32 v20, 0x1000, v41
	ds_read2_b32 v[18:19], v20 offset0:144 offset1:160
	v_max_f32_e32 v21, v1, v1
	s_mov_b32 s6, 0xff800000
	s_waitcnt lgkmcnt(0)
	v_max_f32_e32 v22, v19, v19
	v_max_f32_e32 v21, v22, v21
	v_sub_f32_e32 v22, v19, v21
	v_sub_f32_e32 v1, v1, v21
	v_mul_f32_e32 v22, 0x3fb8aa3b, v22
	v_exp_f32_e32 v22, v22
	v_mul_f32_e32 v1, 0x3fb8aa3b, v1
	v_exp_f32_e32 v1, v1
	v_cmp_neq_f32_e32 vcc, s6, v19
	v_cndmask_b32_e32 v19, 0, v22, vcc
	v_mul_f32_e32 v22, v18, v19
	v_fmac_f32_e32 v1, v18, v19
	v_div_scale_f32 v18, s[6:7], v1, v1, v22
	v_rcp_f32_e32 v19, v18
	v_div_scale_f32 v23, vcc, v22, v1, v22
	v_fma_f32 v24, -v18, v19, 1.0
	v_fmac_f32_e32 v19, v24, v19
	v_mul_f32_e32 v24, v23, v19
	v_fma_f32 v25, -v18, v24, v23
	v_fmac_f32_e32 v24, v25, v19
	v_fma_f32 v18, -v18, v24, v23
	v_div_fmas_f32 v18, v18, v19, v24
	v_div_fixup_f32 v18, v18, v1, v22
	v_cmp_lt_f32_e32 vcc, 0, v1
	v_cndmask_b32_e32 v18, 1.0, v18, vcc
	ds_write_b32 v41, v18 offset:4928
	ds_write2_b32 v20, v1, v21 offset0:144 offset1:160
.LBB22_264:
	s_andn2_saveexec_b64 s[4:5], s[4:5]
	s_cbranch_execz .LBB22_266
; %bb.265:
	v_mov_b32_e32 v1, 1.0
	ds_write_b32 v41, v1 offset:4928
.LBB22_266:
	s_or_b64 exec, exec, s[4:5]
.LBB22_267:
	s_or_b64 exec, exec, s[2:3]
	v_or_b32_e32 v1, 1, v40
	v_cmp_le_u32_e32 vcc, s70, v1
	s_and_saveexec_b64 s[2:3], vcc
	s_xor_b64 s[2:3], exec, s[2:3]
	s_cbranch_execz .LBB22_271
; %bb.268:
	v_cmp_gt_u32_e32 vcc, 64, v0
	s_and_saveexec_b64 s[4:5], vcc
	s_cbranch_execz .LBB22_270
; %bb.269:
	v_lshlrev_b32_e32 v1, 2, v40
	v_mov_b32_e32 v18, 1.0
	ds_write_b32 v1, v18 offset:4932
.LBB22_270:
	s_or_b64 exec, exec, s[4:5]
.LBB22_271:
	s_andn2_saveexec_b64 s[2:3], s[2:3]
	s_cbranch_execz .LBB22_277
; %bb.272:
	s_ashr_i32 s4, s33, 31
	v_mov_b32_e32 v1, s4
	v_add_co_u32_e32 v18, vcc, s33, v40
	v_addc_co_u32_e32 v19, vcc, 0, v1, vcc
	v_lshlrev_b64 v[18:19], 1, v[18:19]
	v_mov_b32_e32 v1, s47
	v_add_co_u32_e32 v18, vcc, s46, v18
	v_addc_co_u32_e32 v19, vcc, v1, v19, vcc
	global_load_ushort v1, v[18:19], off offset:2
	s_movk_i32 s4, 0x1f8
	s_waitcnt vmcnt(0)
	v_lshlrev_b32_e32 v1, 16, v1
	v_cmp_class_f32_e64 s[4:5], v1, s4
	s_and_saveexec_b64 s[6:7], s[4:5]
	s_xor_b64 s[4:5], exec, s[6:7]
	s_cbranch_execz .LBB22_274
; %bb.273:
	v_lshlrev_b32_e32 v20, 2, v40
	v_add_u32_e32 v21, 0x1000, v20
	ds_read2_b32 v[18:19], v21 offset0:145 offset1:161
	v_max_f32_e32 v22, v1, v1
	s_mov_b32 s6, 0xff800000
	s_waitcnt lgkmcnt(0)
	v_max_f32_e32 v23, v19, v19
	v_max_f32_e32 v22, v23, v22
	v_sub_f32_e32 v23, v19, v22
	v_sub_f32_e32 v1, v1, v22
	v_mul_f32_e32 v23, 0x3fb8aa3b, v23
	v_exp_f32_e32 v23, v23
	v_mul_f32_e32 v1, 0x3fb8aa3b, v1
	v_exp_f32_e32 v1, v1
	v_cmp_neq_f32_e32 vcc, s6, v19
	v_cndmask_b32_e32 v19, 0, v23, vcc
	v_mul_f32_e32 v23, v18, v19
	v_fmac_f32_e32 v1, v18, v19
	v_div_scale_f32 v18, s[6:7], v1, v1, v23
	v_rcp_f32_e32 v19, v18
	v_div_scale_f32 v24, vcc, v23, v1, v23
	v_fma_f32 v25, -v18, v19, 1.0
	v_fmac_f32_e32 v19, v25, v19
	v_mul_f32_e32 v25, v24, v19
	v_fma_f32 v26, -v18, v25, v24
	v_fmac_f32_e32 v25, v26, v19
	v_fma_f32 v18, -v18, v25, v24
	v_div_fmas_f32 v18, v18, v19, v25
	v_div_fixup_f32 v18, v18, v1, v23
	v_cmp_lt_f32_e32 vcc, 0, v1
	v_cndmask_b32_e32 v18, 1.0, v18, vcc
	ds_write_b32 v20, v18 offset:4932
	ds_write2_b32 v21, v1, v22 offset0:145 offset1:161
.LBB22_274:
	s_andn2_saveexec_b64 s[4:5], s[4:5]
	s_cbranch_execz .LBB22_276
; %bb.275:
	v_lshlrev_b32_e32 v1, 2, v40
	v_mov_b32_e32 v18, 1.0
	ds_write_b32 v1, v18 offset:4932
.LBB22_276:
	s_or_b64 exec, exec, s[4:5]
.LBB22_277:
	s_or_b64 exec, exec, s[2:3]
	v_or_b32_e32 v1, 2, v40
	v_cmp_le_u32_e32 vcc, s70, v1
	s_and_saveexec_b64 s[2:3], vcc
	s_xor_b64 s[2:3], exec, s[2:3]
	s_cbranch_execz .LBB22_281
; %bb.278:
	v_cmp_gt_u32_e32 vcc, 64, v0
	s_and_saveexec_b64 s[4:5], vcc
	s_cbranch_execz .LBB22_280
; %bb.279:
	v_lshlrev_b32_e32 v1, 2, v40
	v_mov_b32_e32 v18, 1.0
	ds_write_b32 v1, v18 offset:4936
.LBB22_280:
	s_or_b64 exec, exec, s[4:5]
.LBB22_281:
	s_andn2_saveexec_b64 s[2:3], s[2:3]
	s_cbranch_execz .LBB22_287
; %bb.282:
	s_ashr_i32 s4, s33, 31
	v_mov_b32_e32 v1, s4
	v_add_co_u32_e32 v18, vcc, s33, v40
	v_addc_co_u32_e32 v19, vcc, 0, v1, vcc
	v_lshlrev_b64 v[18:19], 1, v[18:19]
	v_mov_b32_e32 v1, s47
	v_add_co_u32_e32 v18, vcc, s46, v18
	v_addc_co_u32_e32 v19, vcc, v1, v19, vcc
	global_load_ushort v1, v[18:19], off offset:4
	s_movk_i32 s4, 0x1f8
	s_waitcnt vmcnt(0)
	v_lshlrev_b32_e32 v1, 16, v1
	v_cmp_class_f32_e64 s[4:5], v1, s4
	s_and_saveexec_b64 s[6:7], s[4:5]
	s_xor_b64 s[4:5], exec, s[6:7]
	s_cbranch_execz .LBB22_284
; %bb.283:
	v_lshlrev_b32_e32 v20, 2, v40
	v_add_u32_e32 v21, 0x1000, v20
	ds_read2_b32 v[18:19], v21 offset0:146 offset1:162
	v_max_f32_e32 v22, v1, v1
	s_mov_b32 s6, 0xff800000
	s_waitcnt lgkmcnt(0)
	v_max_f32_e32 v23, v19, v19
	v_max_f32_e32 v22, v23, v22
	v_sub_f32_e32 v23, v19, v22
	v_sub_f32_e32 v1, v1, v22
	v_mul_f32_e32 v23, 0x3fb8aa3b, v23
	v_exp_f32_e32 v23, v23
	v_mul_f32_e32 v1, 0x3fb8aa3b, v1
	v_exp_f32_e32 v1, v1
	v_cmp_neq_f32_e32 vcc, s6, v19
	v_cndmask_b32_e32 v19, 0, v23, vcc
	v_mul_f32_e32 v23, v18, v19
	v_fmac_f32_e32 v1, v18, v19
	v_div_scale_f32 v18, s[6:7], v1, v1, v23
	v_rcp_f32_e32 v19, v18
	v_div_scale_f32 v24, vcc, v23, v1, v23
	v_fma_f32 v25, -v18, v19, 1.0
	v_fmac_f32_e32 v19, v25, v19
	v_mul_f32_e32 v25, v24, v19
	v_fma_f32 v26, -v18, v25, v24
	v_fmac_f32_e32 v25, v26, v19
	v_fma_f32 v18, -v18, v25, v24
	v_div_fmas_f32 v18, v18, v19, v25
	v_div_fixup_f32 v18, v18, v1, v23
	v_cmp_lt_f32_e32 vcc, 0, v1
	v_cndmask_b32_e32 v18, 1.0, v18, vcc
	ds_write_b32 v20, v18 offset:4936
	ds_write2_b32 v21, v1, v22 offset0:146 offset1:162
.LBB22_284:
	s_andn2_saveexec_b64 s[4:5], s[4:5]
	s_cbranch_execz .LBB22_286
; %bb.285:
	v_lshlrev_b32_e32 v1, 2, v40
	v_mov_b32_e32 v18, 1.0
	ds_write_b32 v1, v18 offset:4936
.LBB22_286:
	s_or_b64 exec, exec, s[4:5]
.LBB22_287:
	s_or_b64 exec, exec, s[2:3]
	v_cmp_le_u32_e32 vcc, s70, v42
	s_and_saveexec_b64 s[2:3], vcc
	s_xor_b64 s[2:3], exec, s[2:3]
	s_cbranch_execz .LBB22_291
; %bb.288:
	v_cmp_gt_u32_e32 vcc, 64, v0
	s_and_saveexec_b64 s[4:5], vcc
	s_cbranch_execz .LBB22_290
; %bb.289:
	v_lshlrev_b32_e32 v1, 2, v40
	v_mov_b32_e32 v18, 1.0
	ds_write_b32 v1, v18 offset:4940
.LBB22_290:
	s_or_b64 exec, exec, s[4:5]
.LBB22_291:
	s_andn2_saveexec_b64 s[2:3], s[2:3]
	s_cbranch_execz .LBB22_296
; %bb.292:
	s_ashr_i32 s2, s33, 31
	v_mov_b32_e32 v1, s2
	v_add_co_u32_e32 v18, vcc, s33, v40
	v_addc_co_u32_e32 v19, vcc, 0, v1, vcc
	v_lshlrev_b64 v[18:19], 1, v[18:19]
	v_mov_b32_e32 v1, s47
	v_add_co_u32_e32 v18, vcc, s46, v18
	v_addc_co_u32_e32 v19, vcc, v1, v19, vcc
	global_load_ushort v1, v[18:19], off offset:6
	s_movk_i32 s2, 0x1f8
	s_waitcnt vmcnt(0)
	v_lshlrev_b32_e32 v18, 16, v1
	v_cmp_class_f32_e64 s[2:3], v18, s2
	v_lshlrev_b32_e32 v1, 2, v40
	s_and_saveexec_b64 s[4:5], s[2:3]
	s_xor_b64 s[2:3], exec, s[4:5]
	s_cbranch_execz .LBB22_294
; %bb.293:
	v_add_u32_e32 v19, 0x1000, v1
	ds_read2_b32 v[20:21], v19 offset0:147 offset1:163
	v_max_f32_e32 v22, v18, v18
	s_mov_b32 s4, 0xff800000
	s_waitcnt lgkmcnt(0)
	v_max_f32_e32 v23, v21, v21
	v_max_f32_e32 v22, v23, v22
	v_sub_f32_e32 v23, v21, v22
	v_sub_f32_e32 v18, v18, v22
	v_mul_f32_e32 v23, 0x3fb8aa3b, v23
	v_exp_f32_e32 v23, v23
	v_mul_f32_e32 v18, 0x3fb8aa3b, v18
	v_exp_f32_e32 v18, v18
	v_cmp_neq_f32_e32 vcc, s4, v21
	v_cndmask_b32_e32 v21, 0, v23, vcc
	v_mul_f32_e32 v23, v20, v21
	v_fmac_f32_e32 v18, v20, v21
	v_div_scale_f32 v20, s[4:5], v18, v18, v23
	v_rcp_f32_e32 v21, v20
	v_div_scale_f32 v24, vcc, v23, v18, v23
	v_fma_f32 v25, -v20, v21, 1.0
	v_fmac_f32_e32 v21, v25, v21
	v_mul_f32_e32 v25, v24, v21
	v_fma_f32 v26, -v20, v25, v24
	v_fmac_f32_e32 v25, v26, v21
	v_fma_f32 v20, -v20, v25, v24
	v_div_fmas_f32 v20, v20, v21, v25
	v_div_fixup_f32 v20, v20, v18, v23
	v_cmp_lt_f32_e32 vcc, 0, v18
	v_cndmask_b32_e32 v20, 1.0, v20, vcc
	ds_write_b32 v1, v20 offset:4940
	ds_write2_b32 v19, v18, v22 offset0:147 offset1:163
                                        ; implicit-def: $vgpr1
.LBB22_294:
	s_andn2_saveexec_b64 s[2:3], s[2:3]
	s_cbranch_execz .LBB22_296
; %bb.295:
	v_mov_b32_e32 v18, 1.0
	ds_write_b32 v1, v18 offset:4940
.LBB22_296:
	s_or_b64 exec, exec, s[0:1]
	s_waitcnt lgkmcnt(0)
	s_barrier
	ds_read_b96 v[18:20], v41 offset:4928
	v_cmp_gt_u32_e32 vcc, 64, v0
	v_mov_b32_e32 v1, 1.0
	s_and_saveexec_b64 s[0:1], vcc
	s_cbranch_execz .LBB22_298
; %bb.297:
	v_lshl_or_b32 v1, v40, 2, 12
	ds_read_b32 v1, v1 offset:4928
.LBB22_298:
	s_or_b64 exec, exec, s[0:1]
	s_waitcnt lgkmcnt(0)
	v_pk_mul_f32 v[14:15], v[14:15], v[18:19]
	v_pk_mul_f32 v[10:11], v[10:11], v[18:19]
	v_pk_mul_f32 v[2:3], v[2:3], v[18:19]
	v_pk_mul_f32 v[6:7], v[6:7], v[18:19]
	v_mul_f32_e32 v12, v12, v20
	v_mul_f32_e32 v4, v4, v20
	;; [unrolled: 1-line block ×8, first 2 shown]
.LBB22_299:
	s_lshl_b64 s[0:1], s[56:57], 2
	s_add_u32 s2, s54, s0
	v_or_b32_e32 v0, 48, v0
	s_addc_u32 s3, s55, s1
	v_cmp_gt_u32_e32 vcc, s53, v39
	v_lshlrev_b32_e32 v1, 2, v38
	v_lshlrev_b32_e32 v0, 2, v0
	s_and_saveexec_b64 s[0:1], vcc
	s_cbranch_execz .LBB22_303
; %bb.300:
	v_add_u32_e32 v18, s33, v39
	v_ashrrev_i32_e32 v19, 31, v18
	v_lshlrev_b64 v[18:19], 8, v[18:19]
	v_mov_b32_e32 v20, s3
	v_add_co_u32_e32 v21, vcc, s2, v18
	v_addc_co_u32_e32 v20, vcc, v20, v19, vcc
	v_add_co_u32_e32 v18, vcc, v21, v1
	v_addc_co_u32_e32 v19, vcc, 0, v20, vcc
	global_store_dword v[18:19], v10, off
	global_store_dword v[18:19], v2, off offset:64
	global_store_dword v[18:19], v6, off offset:128
	v_add_co_u32_e32 v18, vcc, v21, v0
	v_addc_co_u32_e32 v19, vcc, 0, v20, vcc
	global_store_dword v[18:19], v14, off
	s_or_b64 exec, exec, s[0:1]
	v_cmp_gt_u32_e32 vcc, s70, v44
	s_and_saveexec_b64 s[0:1], vcc
	s_cbranch_execnz .LBB22_304
.LBB22_301:
	s_or_b64 exec, exec, s[0:1]
	v_cmp_gt_u32_e32 vcc, s70, v43
	s_and_saveexec_b64 s[0:1], vcc
	s_cbranch_execz .LBB22_305
.LBB22_302:
	v_add_u32_e32 v2, s33, v43
	v_ashrrev_i32_e32 v3, 31, v2
	v_lshlrev_b64 v[2:3], 8, v[2:3]
	v_mov_b32_e32 v6, s3
	v_add_co_u32_e32 v7, vcc, s2, v2
	v_addc_co_u32_e32 v6, vcc, v6, v3, vcc
	v_add_co_u32_e32 v2, vcc, v7, v1
	v_addc_co_u32_e32 v3, vcc, 0, v6, vcc
	global_store_dword v[2:3], v12, off
	global_store_dword v[2:3], v4, off offset:64
	global_store_dword v[2:3], v8, off offset:128
	v_add_co_u32_e32 v2, vcc, v7, v0
	v_addc_co_u32_e32 v3, vcc, 0, v6, vcc
	global_store_dword v[2:3], v16, off
	s_or_b64 exec, exec, s[0:1]
	v_cmp_gt_u32_e32 vcc, s70, v42
	s_and_b64 exec, exec, vcc
	s_cbranch_execnz .LBB22_306
	s_branch .LBB22_307
.LBB22_303:
	s_or_b64 exec, exec, s[0:1]
	v_cmp_gt_u32_e32 vcc, s70, v44
	s_and_saveexec_b64 s[0:1], vcc
	s_cbranch_execz .LBB22_301
.LBB22_304:
	v_add_u32_e32 v18, s33, v44
	v_ashrrev_i32_e32 v19, 31, v18
	v_lshlrev_b64 v[18:19], 8, v[18:19]
	v_mov_b32_e32 v2, s3
	v_add_co_u32_e32 v6, vcc, s2, v18
	v_addc_co_u32_e32 v10, vcc, v2, v19, vcc
	v_add_co_u32_e32 v18, vcc, v6, v1
	v_addc_co_u32_e32 v19, vcc, 0, v10, vcc
	v_add_co_u32_e32 v2, vcc, v6, v0
	global_store_dword v[18:19], v11, off
	global_store_dword v[18:19], v3, off offset:64
	global_store_dword v[18:19], v7, off offset:128
	v_addc_co_u32_e32 v3, vcc, 0, v10, vcc
	global_store_dword v[2:3], v15, off
	s_or_b64 exec, exec, s[0:1]
	v_cmp_gt_u32_e32 vcc, s70, v43
	s_and_saveexec_b64 s[0:1], vcc
	s_cbranch_execnz .LBB22_302
.LBB22_305:
	s_or_b64 exec, exec, s[0:1]
	v_cmp_gt_u32_e32 vcc, s70, v42
	s_and_b64 exec, exec, vcc
	s_cbranch_execz .LBB22_307
.LBB22_306:
	v_add_u32_e32 v2, s33, v42
	v_ashrrev_i32_e32 v3, 31, v2
	v_lshlrev_b64 v[2:3], 8, v[2:3]
	v_mov_b32_e32 v4, s3
	v_add_co_u32_e32 v6, vcc, s2, v2
	v_addc_co_u32_e32 v4, vcc, v4, v3, vcc
	v_add_co_u32_e32 v2, vcc, v6, v1
	v_addc_co_u32_e32 v3, vcc, 0, v4, vcc
	;; [unrolled: 2-line block ×3, first 2 shown]
	global_store_dword v[2:3], v13, off
	global_store_dword v[2:3], v5, off offset:64
	global_store_dword v[2:3], v9, off offset:128
	global_store_dword v[0:1], v17, off
.LBB22_307:
	s_endpgm
	.section	.rodata,"a",@progbits
	.p2align	6, 0x0
	.amdhsa_kernel _Z22fa2_decode_mfma_head64I14__hip_bfloat16Lb1ELi16ELi16EEvPKfPKvS4_S2_PKS0_PfiiiiiiiiPKiS9_xPKxS9_S9_i
		.amdhsa_group_segment_fixed_size 4992
		.amdhsa_private_segment_fixed_size 0
		.amdhsa_kernarg_size 132
		.amdhsa_user_sgpr_count 6
		.amdhsa_user_sgpr_private_segment_buffer 1
		.amdhsa_user_sgpr_dispatch_ptr 0
		.amdhsa_user_sgpr_queue_ptr 0
		.amdhsa_user_sgpr_kernarg_segment_ptr 1
		.amdhsa_user_sgpr_dispatch_id 0
		.amdhsa_user_sgpr_flat_scratch_init 0
		.amdhsa_user_sgpr_kernarg_preload_length 0
		.amdhsa_user_sgpr_kernarg_preload_offset 0
		.amdhsa_user_sgpr_private_segment_size 0
		.amdhsa_uses_dynamic_stack 0
		.amdhsa_system_sgpr_private_segment_wavefront_offset 0
		.amdhsa_system_sgpr_workgroup_id_x 1
		.amdhsa_system_sgpr_workgroup_id_y 1
		.amdhsa_system_sgpr_workgroup_id_z 0
		.amdhsa_system_sgpr_workgroup_info 0
		.amdhsa_system_vgpr_workitem_id 0
		.amdhsa_next_free_vgpr 99
		.amdhsa_next_free_sgpr 91
		.amdhsa_accum_offset 100
		.amdhsa_reserve_vcc 1
		.amdhsa_reserve_flat_scratch 0
		.amdhsa_float_round_mode_32 0
		.amdhsa_float_round_mode_16_64 0
		.amdhsa_float_denorm_mode_32 3
		.amdhsa_float_denorm_mode_16_64 3
		.amdhsa_dx10_clamp 1
		.amdhsa_ieee_mode 1
		.amdhsa_fp16_overflow 0
		.amdhsa_tg_split 0
		.amdhsa_exception_fp_ieee_invalid_op 0
		.amdhsa_exception_fp_denorm_src 0
		.amdhsa_exception_fp_ieee_div_zero 0
		.amdhsa_exception_fp_ieee_overflow 0
		.amdhsa_exception_fp_ieee_underflow 0
		.amdhsa_exception_fp_ieee_inexact 0
		.amdhsa_exception_int_div_zero 0
	.end_amdhsa_kernel
	.section	.text._Z22fa2_decode_mfma_head64I14__hip_bfloat16Lb1ELi16ELi16EEvPKfPKvS4_S2_PKS0_PfiiiiiiiiPKiS9_xPKxS9_S9_i,"axG",@progbits,_Z22fa2_decode_mfma_head64I14__hip_bfloat16Lb1ELi16ELi16EEvPKfPKvS4_S2_PKS0_PfiiiiiiiiPKiS9_xPKxS9_S9_i,comdat
.Lfunc_end22:
	.size	_Z22fa2_decode_mfma_head64I14__hip_bfloat16Lb1ELi16ELi16EEvPKfPKvS4_S2_PKS0_PfiiiiiiiiPKiS9_xPKxS9_S9_i, .Lfunc_end22-_Z22fa2_decode_mfma_head64I14__hip_bfloat16Lb1ELi16ELi16EEvPKfPKvS4_S2_PKS0_PfiiiiiiiiPKiS9_xPKxS9_S9_i
                                        ; -- End function
	.section	.AMDGPU.csdata,"",@progbits
; Kernel info:
; codeLenInByte = 11556
; NumSgprs: 95
; NumVgprs: 99
; NumAgprs: 0
; TotalNumVgprs: 99
; ScratchSize: 0
; MemoryBound: 0
; FloatMode: 240
; IeeeMode: 1
; LDSByteSize: 4992 bytes/workgroup (compile time only)
; SGPRBlocks: 11
; VGPRBlocks: 12
; NumSGPRsForWavesPerEU: 95
; NumVGPRsForWavesPerEU: 99
; AccumOffset: 100
; Occupancy: 4
; WaveLimiterHint : 1
; COMPUTE_PGM_RSRC2:SCRATCH_EN: 0
; COMPUTE_PGM_RSRC2:USER_SGPR: 6
; COMPUTE_PGM_RSRC2:TRAP_HANDLER: 0
; COMPUTE_PGM_RSRC2:TGID_X_EN: 1
; COMPUTE_PGM_RSRC2:TGID_Y_EN: 1
; COMPUTE_PGM_RSRC2:TGID_Z_EN: 0
; COMPUTE_PGM_RSRC2:TIDIG_COMP_CNT: 0
; COMPUTE_PGM_RSRC3_GFX90A:ACCUM_OFFSET: 24
; COMPUTE_PGM_RSRC3_GFX90A:TG_SPLIT: 0
	.section	.text._Z22fa2_decode_mfma_head64I14__hip_bfloat16Lb0ELi16ELi16EEvPKfPKvS4_S2_PKS0_PfiiiiiiiiPKiS9_xPKxS9_S9_i,"axG",@progbits,_Z22fa2_decode_mfma_head64I14__hip_bfloat16Lb0ELi16ELi16EEvPKfPKvS4_S2_PKS0_PfiiiiiiiiPKiS9_xPKxS9_S9_i,comdat
	.protected	_Z22fa2_decode_mfma_head64I14__hip_bfloat16Lb0ELi16ELi16EEvPKfPKvS4_S2_PKS0_PfiiiiiiiiPKiS9_xPKxS9_S9_i ; -- Begin function _Z22fa2_decode_mfma_head64I14__hip_bfloat16Lb0ELi16ELi16EEvPKfPKvS4_S2_PKS0_PfiiiiiiiiPKiS9_xPKxS9_S9_i
	.globl	_Z22fa2_decode_mfma_head64I14__hip_bfloat16Lb0ELi16ELi16EEvPKfPKvS4_S2_PKS0_PfiiiiiiiiPKiS9_xPKxS9_S9_i
	.p2align	8
	.type	_Z22fa2_decode_mfma_head64I14__hip_bfloat16Lb0ELi16ELi16EEvPKfPKvS4_S2_PKS0_PfiiiiiiiiPKiS9_xPKxS9_S9_i,@function
_Z22fa2_decode_mfma_head64I14__hip_bfloat16Lb0ELi16ELi16EEvPKfPKvS4_S2_PKS0_PfiiiiiiiiPKiS9_xPKxS9_S9_i: ; @_Z22fa2_decode_mfma_head64I14__hip_bfloat16Lb0ELi16ELi16EEvPKfPKvS4_S2_PKS0_PfiiiiiiiiPKiS9_xPKxS9_S9_i
; %bb.0:
	s_load_dword s0, s[4:5], 0x30
	s_load_dwordx2 s[38:39], s[4:5], 0x3c
	v_cmp_gt_u32_e32 vcc, 64, v0
	s_waitcnt lgkmcnt(0)
	s_cmp_lt_i32 s7, s0
	s_cselect_b64 s[0:1], -1, 0
	s_and_b64 s[0:1], vcc, s[0:1]
	s_cmp_gt_i32 s39, 0
	s_cselect_b64 s[8:9], -1, 0
	s_and_b64 s[0:1], s[0:1], s[8:9]
	s_and_saveexec_b64 s[8:9], s[0:1]
	s_cbranch_execz .LBB23_283
; %bb.1:
	s_load_dwordx2 s[16:17], s[4:5], 0x48
	s_mul_i32 s33, s6, s39
	s_waitcnt lgkmcnt(0)
	s_cmp_ge_i32 s33, s17
	s_cbranch_scc1 .LBB23_283
; %bb.2:
	s_mov_b32 s2, s7
	s_load_dwordx4 s[8:11], s[4:5], 0x50
	s_load_dwordx2 s[0:1], s[4:5], 0x78
	s_load_dwordx4 s[24:27], s[4:5], 0x68
	s_load_dwordx2 s[18:19], s[4:5], 0x0
	s_ashr_i32 s3, s7, 31
	s_lshl_b64 s[12:13], s[2:3], 2
	s_waitcnt lgkmcnt(0)
	s_add_u32 s14, s8, s12
	s_addc_u32 s15, s9, s13
	s_ashr_i32 s9, s16, 31
	s_mov_b32 s8, s16
	s_lshl_b64 s[28:29], s[8:9], 2
	s_add_u32 s20, s0, s28
	s_addc_u32 s21, s1, s29
	s_lshl_b64 s[0:1], s[8:9], 3
	s_add_u32 s22, s24, s0
	s_addc_u32 s23, s25, s1
	s_add_u32 s24, s26, s28
	s_addc_u32 s25, s27, s29
	;; [unrolled: 2-line block ×3, first 2 shown]
	v_cmp_gt_u32_e64 s[0:1], 16, v0
	s_and_saveexec_b64 s[8:9], s[0:1]
	s_cbranch_execz .LBB23_4
; %bb.3:
	v_lshlrev_b32_e32 v1, 2, v0
	v_mov_b32_e32 v2, 0xff800000
	v_mov_b32_e32 v3, 0
	v_add_u32_e32 v1, 0x1000, v1
	ds_write2_b32 v1, v3, v2 offset0:144 offset1:160
.LBB23_4:
	s_or_b64 exec, exec, s[8:9]
	s_load_dwordx4 s[8:11], s[4:5], 0x8
	s_load_dwordx4 s[40:43], s[4:5], 0x20
	s_load_dwordx2 s[12:13], s[22:23], 0x0
	s_load_dword s60, s[14:15], 0x0
	s_load_dword s28, s[20:21], 0x0
	;; [unrolled: 1-line block ×4, first 2 shown]
	s_mul_hi_i32 s15, s2, s17
	s_mul_i32 s14, s2, s17
	v_and_b32_e32 v38, 15, v0
	s_lshl_b64 s[2:3], s[14:15], 8
	v_add_u32_e32 v2, s33, v38
	s_add_u32 s16, s18, s2
	v_rsq_f32_e32 v1, 0x42800000
	v_ashrrev_i32_e32 v3, 31, v2
	s_addc_u32 s17, s19, s3
	v_lshlrev_b64 v[2:3], 8, v[2:3]
	v_lshrrev_b32_e32 v40, 2, v0
	v_mov_b32_e32 v5, s17
	v_add_co_u32_e32 v4, vcc, s16, v2
	v_and_b32_e32 v39, 12, v40
	v_mov_b32_e32 v23, 0
	v_cmp_gt_u32_e64 s[2:3], s39, v38
	v_addc_co_u32_e32 v5, vcc, v5, v3, vcc
	v_lshlrev_b32_e32 v41, 2, v39
	v_mov_b32_e32 v22, v23
	s_waitcnt lgkmcnt(0)
	s_barrier
	s_and_saveexec_b64 s[16:17], s[2:3]
	s_cbranch_execz .LBB23_22
; %bb.5:
	v_add_co_u32_e32 v2, vcc, v4, v41
	v_addc_co_u32_e32 v3, vcc, 0, v5, vcc
	global_load_dword v6, v[2:3], off
	s_mov_b32 s18, 0x7f800000
	s_waitcnt vmcnt(0)
	v_mul_f32_e32 v7, v1, v6
	v_and_b32_e32 v6, 0x7f800000, v7
	v_cmp_ne_u32_e32 vcc, s18, v6
                                        ; implicit-def: $vgpr6
	s_and_saveexec_b64 s[18:19], vcc
	s_xor_b64 s[18:19], exec, s[18:19]
; %bb.6:
	v_bfe_u32 v6, v7, 16, 1
	s_movk_i32 s20, 0x7fff
	v_add3_u32 v6, v7, v6, s20
                                        ; implicit-def: $vgpr7
; %bb.7:
	s_andn2_saveexec_b64 s[18:19], s[18:19]
; %bb.8:
	v_mov_b32_e32 v6, 0
	v_or_b32_e32 v8, 0x10000, v7
	v_cmp_eq_u32_sdwa vcc, v7, v6 src0_sel:WORD_0 src1_sel:DWORD
	v_cndmask_b32_e32 v6, v8, v7, vcc
; %bb.9:
	s_or_b64 exec, exec, s[18:19]
	global_load_dword v7, v[2:3], off offset:4
	s_mov_b32 s18, 0x7f800000
	s_waitcnt vmcnt(0)
	v_mul_f32_e32 v8, v1, v7
	v_and_b32_e32 v7, 0x7f800000, v8
	v_cmp_ne_u32_e32 vcc, s18, v7
                                        ; implicit-def: $vgpr7
	s_and_saveexec_b64 s[18:19], vcc
	s_xor_b64 s[18:19], exec, s[18:19]
; %bb.10:
	v_bfe_u32 v7, v8, 16, 1
	s_movk_i32 s20, 0x7fff
	v_add3_u32 v7, v8, v7, s20
                                        ; implicit-def: $vgpr8
; %bb.11:
	s_andn2_saveexec_b64 s[18:19], s[18:19]
; %bb.12:
	v_mov_b32_e32 v7, 0
	v_or_b32_e32 v9, 0x10000, v8
	v_cmp_eq_u32_sdwa vcc, v8, v7 src0_sel:WORD_0 src1_sel:DWORD
	v_cndmask_b32_e32 v7, v9, v8, vcc
; %bb.13:
	s_or_b64 exec, exec, s[18:19]
	global_load_dword v2, v[2:3], off offset:8
	s_mov_b32 s18, 0x7f800000
	s_waitcnt vmcnt(0)
	v_mul_f32_e32 v3, v1, v2
	v_and_b32_e32 v2, 0x7f800000, v3
	v_cmp_ne_u32_e32 vcc, s18, v2
                                        ; implicit-def: $vgpr2
	s_and_saveexec_b64 s[18:19], vcc
	s_xor_b64 s[18:19], exec, s[18:19]
; %bb.14:
	v_bfe_u32 v2, v3, 16, 1
	s_movk_i32 s20, 0x7fff
	v_add3_u32 v2, v3, v2, s20
                                        ; implicit-def: $vgpr3
; %bb.15:
	s_andn2_saveexec_b64 s[18:19], s[18:19]
; %bb.16:
	v_mov_b32_e32 v2, 0
	v_or_b32_e32 v8, 0x10000, v3
	v_cmp_eq_u32_sdwa vcc, v3, v2 src0_sel:WORD_0 src1_sel:DWORD
	v_cndmask_b32_e32 v2, v8, v3, vcc
; %bb.17:
	s_or_b64 exec, exec, s[18:19]
	v_lshl_or_b32 v3, v40, 2, 12
	v_add_co_u32_e32 v8, vcc, v4, v3
	v_addc_co_u32_e32 v9, vcc, 0, v5, vcc
	global_load_dword v3, v[8:9], off
	s_mov_b32 s18, 0x7f800000
	s_waitcnt vmcnt(0)
	v_mul_f32_e32 v3, v1, v3
	v_and_b32_e32 v8, 0x7f800000, v3
	v_cmp_ne_u32_e32 vcc, s18, v8
                                        ; implicit-def: $vgpr8
	s_and_saveexec_b64 s[18:19], vcc
	s_xor_b64 s[18:19], exec, s[18:19]
; %bb.18:
	v_bfe_u32 v8, v3, 16, 1
	s_movk_i32 s20, 0x7fff
	v_add3_u32 v8, v3, v8, s20
                                        ; implicit-def: $vgpr3
; %bb.19:
	s_andn2_saveexec_b64 s[18:19], s[18:19]
; %bb.20:
	v_mov_b32_e32 v8, 0
	v_or_b32_e32 v9, 0x10000, v3
	v_cmp_eq_u32_sdwa vcc, v3, v8 src0_sel:WORD_0 src1_sel:DWORD
	v_cndmask_b32_e32 v8, v9, v3, vcc
; %bb.21:
	s_or_b64 exec, exec, s[18:19]
	s_mov_b32 s18, 0x7060302
	v_perm_b32 v22, v7, v6, s18
	v_perm_b32 v23, v8, v2, s18
.LBB23_22:
	s_or_b64 exec, exec, s[16:17]
	v_mov_b32_e32 v25, 0
	s_lshl_b64 s[48:49], s[14:15], 6
	v_mov_b32_e32 v24, v25
	s_and_saveexec_b64 s[14:15], s[2:3]
	s_cbranch_execz .LBB23_40
; %bb.23:
	v_add_co_u32_e32 v2, vcc, v4, v41
	v_addc_co_u32_e32 v3, vcc, 0, v5, vcc
	global_load_dword v6, v[2:3], off offset:64
	s_mov_b32 s16, 0x7f800000
	s_waitcnt vmcnt(0)
	v_mul_f32_e32 v7, v1, v6
	v_and_b32_e32 v6, 0x7f800000, v7
	v_cmp_ne_u32_e32 vcc, s16, v6
                                        ; implicit-def: $vgpr6
	s_and_saveexec_b64 s[16:17], vcc
	s_xor_b64 s[16:17], exec, s[16:17]
; %bb.24:
	v_bfe_u32 v6, v7, 16, 1
	s_movk_i32 s18, 0x7fff
	v_add3_u32 v6, v7, v6, s18
                                        ; implicit-def: $vgpr7
; %bb.25:
	s_andn2_saveexec_b64 s[16:17], s[16:17]
; %bb.26:
	v_mov_b32_e32 v6, 0
	v_or_b32_e32 v8, 0x10000, v7
	v_cmp_eq_u32_sdwa vcc, v7, v6 src0_sel:WORD_0 src1_sel:DWORD
	v_cndmask_b32_e32 v6, v8, v7, vcc
; %bb.27:
	s_or_b64 exec, exec, s[16:17]
	global_load_dword v7, v[2:3], off offset:68
	s_mov_b32 s16, 0x7f800000
	s_waitcnt vmcnt(0)
	v_mul_f32_e32 v8, v1, v7
	v_and_b32_e32 v7, 0x7f800000, v8
	v_cmp_ne_u32_e32 vcc, s16, v7
                                        ; implicit-def: $vgpr7
	s_and_saveexec_b64 s[16:17], vcc
	s_xor_b64 s[16:17], exec, s[16:17]
; %bb.28:
	v_bfe_u32 v7, v8, 16, 1
	s_movk_i32 s18, 0x7fff
	v_add3_u32 v7, v8, v7, s18
                                        ; implicit-def: $vgpr8
; %bb.29:
	s_andn2_saveexec_b64 s[16:17], s[16:17]
; %bb.30:
	v_mov_b32_e32 v7, 0
	v_or_b32_e32 v9, 0x10000, v8
	v_cmp_eq_u32_sdwa vcc, v8, v7 src0_sel:WORD_0 src1_sel:DWORD
	v_cndmask_b32_e32 v7, v9, v8, vcc
; %bb.31:
	s_or_b64 exec, exec, s[16:17]
	global_load_dword v2, v[2:3], off offset:72
	s_mov_b32 s16, 0x7f800000
	s_waitcnt vmcnt(0)
	v_mul_f32_e32 v3, v1, v2
	v_and_b32_e32 v2, 0x7f800000, v3
	v_cmp_ne_u32_e32 vcc, s16, v2
                                        ; implicit-def: $vgpr2
	s_and_saveexec_b64 s[16:17], vcc
	s_xor_b64 s[16:17], exec, s[16:17]
; %bb.32:
	v_bfe_u32 v2, v3, 16, 1
	s_movk_i32 s18, 0x7fff
	v_add3_u32 v2, v3, v2, s18
                                        ; implicit-def: $vgpr3
; %bb.33:
	s_andn2_saveexec_b64 s[16:17], s[16:17]
; %bb.34:
	v_mov_b32_e32 v2, 0
	v_or_b32_e32 v8, 0x10000, v3
	v_cmp_eq_u32_sdwa vcc, v3, v2 src0_sel:WORD_0 src1_sel:DWORD
	v_cndmask_b32_e32 v2, v8, v3, vcc
; %bb.35:
	s_or_b64 exec, exec, s[16:17]
	v_mov_b32_e32 v3, 0x4c
	v_lshl_or_b32 v3, v40, 2, v3
	v_add_co_u32_e32 v8, vcc, v4, v3
	v_addc_co_u32_e32 v9, vcc, 0, v5, vcc
	global_load_dword v3, v[8:9], off
	s_mov_b32 s16, 0x7f800000
	s_waitcnt vmcnt(0)
	v_mul_f32_e32 v3, v1, v3
	v_and_b32_e32 v8, 0x7f800000, v3
	v_cmp_ne_u32_e32 vcc, s16, v8
                                        ; implicit-def: $vgpr8
	s_and_saveexec_b64 s[16:17], vcc
	s_xor_b64 s[16:17], exec, s[16:17]
; %bb.36:
	v_bfe_u32 v8, v3, 16, 1
	s_movk_i32 s18, 0x7fff
	v_add3_u32 v8, v3, v8, s18
                                        ; implicit-def: $vgpr3
; %bb.37:
	s_andn2_saveexec_b64 s[16:17], s[16:17]
; %bb.38:
	v_mov_b32_e32 v8, 0
	v_or_b32_e32 v9, 0x10000, v3
	v_cmp_eq_u32_sdwa vcc, v3, v8 src0_sel:WORD_0 src1_sel:DWORD
	v_cndmask_b32_e32 v8, v9, v3, vcc
; %bb.39:
	s_or_b64 exec, exec, s[16:17]
	s_mov_b32 s16, 0x7060302
	v_perm_b32 v24, v7, v6, s16
	v_perm_b32 v25, v8, v2, s16
.LBB23_40:
	s_or_b64 exec, exec, s[14:15]
	v_mov_b32_e32 v27, 0
	v_mov_b32_e32 v26, v27
	s_and_saveexec_b64 s[14:15], s[2:3]
	s_cbranch_execz .LBB23_58
; %bb.41:
	v_add_co_u32_e32 v2, vcc, v4, v41
	v_addc_co_u32_e32 v3, vcc, 0, v5, vcc
	global_load_dword v6, v[2:3], off offset:128
	s_mov_b32 s16, 0x7f800000
	s_waitcnt vmcnt(0)
	v_mul_f32_e32 v7, v1, v6
	v_and_b32_e32 v6, 0x7f800000, v7
	v_cmp_ne_u32_e32 vcc, s16, v6
                                        ; implicit-def: $vgpr6
	s_and_saveexec_b64 s[16:17], vcc
	s_xor_b64 s[16:17], exec, s[16:17]
; %bb.42:
	v_bfe_u32 v6, v7, 16, 1
	s_movk_i32 s18, 0x7fff
	v_add3_u32 v6, v7, v6, s18
                                        ; implicit-def: $vgpr7
; %bb.43:
	s_andn2_saveexec_b64 s[16:17], s[16:17]
; %bb.44:
	v_mov_b32_e32 v6, 0
	v_or_b32_e32 v8, 0x10000, v7
	v_cmp_eq_u32_sdwa vcc, v7, v6 src0_sel:WORD_0 src1_sel:DWORD
	v_cndmask_b32_e32 v6, v8, v7, vcc
; %bb.45:
	s_or_b64 exec, exec, s[16:17]
	global_load_dword v7, v[2:3], off offset:132
	s_mov_b32 s16, 0x7f800000
	s_waitcnt vmcnt(0)
	v_mul_f32_e32 v8, v1, v7
	v_and_b32_e32 v7, 0x7f800000, v8
	v_cmp_ne_u32_e32 vcc, s16, v7
                                        ; implicit-def: $vgpr7
	s_and_saveexec_b64 s[16:17], vcc
	s_xor_b64 s[16:17], exec, s[16:17]
; %bb.46:
	v_bfe_u32 v7, v8, 16, 1
	s_movk_i32 s18, 0x7fff
	v_add3_u32 v7, v8, v7, s18
                                        ; implicit-def: $vgpr8
; %bb.47:
	s_andn2_saveexec_b64 s[16:17], s[16:17]
; %bb.48:
	v_mov_b32_e32 v7, 0
	v_or_b32_e32 v9, 0x10000, v8
	v_cmp_eq_u32_sdwa vcc, v8, v7 src0_sel:WORD_0 src1_sel:DWORD
	v_cndmask_b32_e32 v7, v9, v8, vcc
; %bb.49:
	s_or_b64 exec, exec, s[16:17]
	global_load_dword v2, v[2:3], off offset:136
	s_mov_b32 s16, 0x7f800000
	s_waitcnt vmcnt(0)
	v_mul_f32_e32 v3, v1, v2
	v_and_b32_e32 v2, 0x7f800000, v3
	v_cmp_ne_u32_e32 vcc, s16, v2
                                        ; implicit-def: $vgpr2
	s_and_saveexec_b64 s[16:17], vcc
	s_xor_b64 s[16:17], exec, s[16:17]
; %bb.50:
	v_bfe_u32 v2, v3, 16, 1
	s_movk_i32 s18, 0x7fff
	v_add3_u32 v2, v3, v2, s18
                                        ; implicit-def: $vgpr3
; %bb.51:
	s_andn2_saveexec_b64 s[16:17], s[16:17]
; %bb.52:
	v_mov_b32_e32 v2, 0
	v_or_b32_e32 v8, 0x10000, v3
	v_cmp_eq_u32_sdwa vcc, v3, v2 src0_sel:WORD_0 src1_sel:DWORD
	v_cndmask_b32_e32 v2, v8, v3, vcc
; %bb.53:
	s_or_b64 exec, exec, s[16:17]
	v_mov_b32_e32 v3, 0x8c
	v_lshl_or_b32 v3, v40, 2, v3
	v_add_co_u32_e32 v8, vcc, v4, v3
	v_addc_co_u32_e32 v9, vcc, 0, v5, vcc
	global_load_dword v3, v[8:9], off
	s_mov_b32 s16, 0x7f800000
	s_waitcnt vmcnt(0)
	v_mul_f32_e32 v3, v1, v3
	v_and_b32_e32 v8, 0x7f800000, v3
	v_cmp_ne_u32_e32 vcc, s16, v8
                                        ; implicit-def: $vgpr8
	s_and_saveexec_b64 s[16:17], vcc
	s_xor_b64 s[16:17], exec, s[16:17]
; %bb.54:
	v_bfe_u32 v8, v3, 16, 1
	s_movk_i32 s18, 0x7fff
	v_add3_u32 v8, v3, v8, s18
                                        ; implicit-def: $vgpr3
; %bb.55:
	s_andn2_saveexec_b64 s[16:17], s[16:17]
; %bb.56:
	v_mov_b32_e32 v8, 0
	v_or_b32_e32 v9, 0x10000, v3
	v_cmp_eq_u32_sdwa vcc, v3, v8 src0_sel:WORD_0 src1_sel:DWORD
	v_cndmask_b32_e32 v8, v9, v3, vcc
; %bb.57:
	s_or_b64 exec, exec, s[16:17]
	s_mov_b32 s16, 0x7060302
	v_perm_b32 v26, v7, v6, s16
	v_perm_b32 v27, v8, v2, s16
.LBB23_58:
	s_or_b64 exec, exec, s[14:15]
	v_mov_b32_e32 v29, 0
	v_mov_b32_e32 v28, v29
	s_and_saveexec_b64 s[14:15], s[2:3]
	s_cbranch_execz .LBB23_76
; %bb.59:
	v_add_co_u32_e32 v2, vcc, v4, v41
	v_addc_co_u32_e32 v3, vcc, 0, v5, vcc
	global_load_dword v6, v[2:3], off offset:192
	s_mov_b32 s16, 0x7f800000
	s_waitcnt vmcnt(0)
	v_mul_f32_e32 v7, v1, v6
	v_and_b32_e32 v6, 0x7f800000, v7
	v_cmp_ne_u32_e32 vcc, s16, v6
                                        ; implicit-def: $vgpr6
	s_and_saveexec_b64 s[16:17], vcc
	s_xor_b64 s[16:17], exec, s[16:17]
; %bb.60:
	v_bfe_u32 v6, v7, 16, 1
	s_movk_i32 s18, 0x7fff
	v_add3_u32 v6, v7, v6, s18
                                        ; implicit-def: $vgpr7
; %bb.61:
	s_andn2_saveexec_b64 s[16:17], s[16:17]
; %bb.62:
	v_mov_b32_e32 v6, 0
	v_or_b32_e32 v8, 0x10000, v7
	v_cmp_eq_u32_sdwa vcc, v7, v6 src0_sel:WORD_0 src1_sel:DWORD
	v_cndmask_b32_e32 v6, v8, v7, vcc
; %bb.63:
	s_or_b64 exec, exec, s[16:17]
	global_load_dword v7, v[2:3], off offset:196
	s_mov_b32 s16, 0x7f800000
	s_waitcnt vmcnt(0)
	v_mul_f32_e32 v8, v1, v7
	v_and_b32_e32 v7, 0x7f800000, v8
	v_cmp_ne_u32_e32 vcc, s16, v7
                                        ; implicit-def: $vgpr7
	s_and_saveexec_b64 s[16:17], vcc
	s_xor_b64 s[16:17], exec, s[16:17]
; %bb.64:
	v_bfe_u32 v7, v8, 16, 1
	s_movk_i32 s18, 0x7fff
	v_add3_u32 v7, v8, v7, s18
                                        ; implicit-def: $vgpr8
; %bb.65:
	s_andn2_saveexec_b64 s[16:17], s[16:17]
; %bb.66:
	v_mov_b32_e32 v7, 0
	v_or_b32_e32 v9, 0x10000, v8
	v_cmp_eq_u32_sdwa vcc, v8, v7 src0_sel:WORD_0 src1_sel:DWORD
	v_cndmask_b32_e32 v7, v9, v8, vcc
; %bb.67:
	s_or_b64 exec, exec, s[16:17]
	global_load_dword v2, v[2:3], off offset:200
	s_mov_b32 s16, 0x7f800000
	s_waitcnt vmcnt(0)
	v_mul_f32_e32 v3, v1, v2
	v_and_b32_e32 v2, 0x7f800000, v3
	v_cmp_ne_u32_e32 vcc, s16, v2
                                        ; implicit-def: $vgpr2
	s_and_saveexec_b64 s[16:17], vcc
	s_xor_b64 s[16:17], exec, s[16:17]
; %bb.68:
	v_bfe_u32 v2, v3, 16, 1
	s_movk_i32 s18, 0x7fff
	v_add3_u32 v2, v3, v2, s18
                                        ; implicit-def: $vgpr3
; %bb.69:
	s_andn2_saveexec_b64 s[16:17], s[16:17]
; %bb.70:
	v_mov_b32_e32 v2, 0
	v_or_b32_e32 v8, 0x10000, v3
	v_cmp_eq_u32_sdwa vcc, v3, v2 src0_sel:WORD_0 src1_sel:DWORD
	v_cndmask_b32_e32 v2, v8, v3, vcc
; %bb.71:
	s_or_b64 exec, exec, s[16:17]
	v_mov_b32_e32 v3, 0xcc
	v_lshl_or_b32 v3, v40, 2, v3
	v_add_co_u32_e32 v4, vcc, v4, v3
	v_addc_co_u32_e32 v5, vcc, 0, v5, vcc
	global_load_dword v3, v[4:5], off
	s_mov_b32 s16, 0x7f800000
	s_waitcnt vmcnt(0)
	v_mul_f32_e32 v1, v1, v3
	v_and_b32_e32 v3, 0x7f800000, v1
	v_cmp_ne_u32_e32 vcc, s16, v3
                                        ; implicit-def: $vgpr3
	s_and_saveexec_b64 s[16:17], vcc
	s_xor_b64 s[16:17], exec, s[16:17]
; %bb.72:
	v_bfe_u32 v3, v1, 16, 1
	s_movk_i32 s18, 0x7fff
	v_add3_u32 v3, v1, v3, s18
                                        ; implicit-def: $vgpr1
; %bb.73:
	s_andn2_saveexec_b64 s[16:17], s[16:17]
; %bb.74:
	v_mov_b32_e32 v3, 0
	v_or_b32_e32 v4, 0x10000, v1
	v_cmp_eq_u32_sdwa vcc, v1, v3 src0_sel:WORD_0 src1_sel:DWORD
	v_cndmask_b32_e32 v3, v4, v1, vcc
; %bb.75:
	s_or_b64 exec, exec, s[16:17]
	s_mov_b32 s16, 0x7060302
	v_perm_b32 v28, v7, v6, s16
	v_perm_b32 v29, v3, v2, s16
.LBB23_76:
	s_or_b64 exec, exec, s[14:15]
	s_sub_i32 s14, s60, s61
	s_max_i32 s14, s14, -1
	s_add_i32 s16, s14, 1
	s_mov_b32 s44, 0
	s_cmp_lg_u32 s28, 0
	s_mov_b32 s45, s44
	s_cselect_b64 s[50:51], -1, 0
	s_mov_b32 s46, s44
	s_mov_b32 s47, s44
	v_pk_mov_b32 v[10:11], s[44:45], s[44:45] op_sel:[0,1]
	s_and_b64 s[14:15], s[50:51], exec
	v_pk_mov_b32 v[12:13], s[46:47], s[46:47] op_sel:[0,1]
	s_cselect_b32 s63, s16, 0
	s_min_u32 s62, s39, 16
	v_pk_mov_b32 v[2:3], v[10:11], v[10:11] op_sel:[0,1]
	v_pk_mov_b32 v[6:7], v[10:11], v[10:11] op_sel:[0,1]
	;; [unrolled: 1-line block ×3, first 2 shown]
	s_cmp_le_i32 s63, s60
	v_cmp_gt_u32_e64 s[30:31], s39, v39
	v_cmp_eq_u32_e64 s[28:29], 0, v38
	v_or_b32_e32 v44, 1, v39
	v_or_b32_e32 v43, 2, v39
	;; [unrolled: 1-line block ×3, first 2 shown]
	v_pk_mov_b32 v[4:5], v[12:13], v[12:13] op_sel:[0,1]
	v_pk_mov_b32 v[8:9], v[12:13], v[12:13] op_sel:[0,1]
	;; [unrolled: 1-line block ×3, first 2 shown]
	s_cbranch_scc0 .LBB23_236
; %bb.77:
	s_load_dword s4, s[4:5], 0x80
	s_mul_i32 s16, s61, s38
	s_mul_hi_i32 s15, s61, s38
	s_mul_hi_u32 s17, s16, s7
	s_mul_i32 s15, s15, s7
	s_waitcnt lgkmcnt(0)
	s_add_i32 s5, s4, -1
	s_cmp_lt_u32 s5, 16
	s_cselect_b32 s64, s4, 16
	s_add_i32 s66, s61, -1
	s_add_i32 s65, s60, 1
	s_and_b32 s4, s61, s66
	s_cmp_lg_u32 s4, 0
	s_cselect_b64 s[46:47], -1, 0
	s_ashr_i32 s14, s7, 31
	s_mul_i32 s14, s16, s14
	s_add_i32 s14, s17, s14
	v_mbcnt_lo_u32_b32 v1, -1, 0
	s_ashr_i32 s5, s38, 31
	s_add_i32 s14, s14, s15
	s_mul_i32 s16, s16, s7
	v_mbcnt_hi_u32_b32 v1, -1, v1
	s_add_u32 s12, s16, s12
	v_lshlrev_b32_e32 v3, 2, v1
	v_lshlrev_b32_e32 v4, 5, v38
	s_addc_u32 s13, s14, s13
	v_and_b32_e32 v47, 0x1c0, v3
	v_lshlrev_b32_e32 v3, 1, v39
	v_or_b32_e32 v5, 0x800, v4
	v_lshlrev_b32_e32 v6, 1, v42
	s_lshl_b64 s[12:13], s[12:13], 1
	v_or_b32_e32 v48, v5, v3
	v_add_u32_e32 v49, v5, v6
	v_lshlrev_b32_e32 v5, 5, v0
	s_add_u32 s8, s8, s12
	v_or_b32_e32 v7, 0x600, v5
	s_addc_u32 s9, s9, s13
	v_add_u32_e32 v7, 0x800, v7
	v_lshlrev_b32_e32 v52, 1, v0
	s_add_u32 s10, s10, s12
	v_or_b32_e32 v50, v7, v3
	v_add_u32_e32 v51, v7, v6
	v_mov_b32_e32 v7, s9
	v_add_co_u32_e32 v53, vcc, s8, v52
	s_addc_u32 s11, s11, s13
	v_addc_co_u32_e32 v54, vcc, 0, v7, vcc
	v_mov_b32_e32 v7, s11
	v_add_co_u32_e32 v55, vcc, s10, v52
	v_lshlrev_b32_e32 v8, 1, v40
	v_and_b32_e32 v2, 15, v1
	v_addc_co_u32_e32 v56, vcc, 0, v7, vcc
	v_lshlrev_b32_e32 v7, 7, v38
	v_or_b32_e32 v9, 38, v8
	v_add_u32_e32 v59, v7, v9
	v_or_b32_e32 v9, 0x46, v8
	v_or_b32_e32 v8, 0x66, v8
	v_cmp_gt_u32_e32 vcc, 8, v2
	v_or_b32_e32 v57, v7, v3
	v_add_u32_e32 v58, v7, v6
	v_add_u32_e32 v60, v7, v9
	;; [unrolled: 1-line block ×3, first 2 shown]
	v_cndmask_b32_e64 v7, 0, 1, vcc
	v_lshlrev_b32_e32 v7, 3, v7
	v_cmp_gt_u32_e32 vcc, 12, v2
	v_add_lshl_u32 v62, v7, v1, 2
	v_cndmask_b32_e64 v7, 0, 1, vcc
	v_lshlrev_b32_e32 v7, 2, v7
	v_cmp_gt_u32_e32 vcc, 14, v2
	v_add_lshl_u32 v63, v7, v1, 2
	v_cndmask_b32_e64 v7, 0, 1, vcc
	v_lshlrev_b32_e32 v7, 1, v7
	v_cmp_ne_u32_e32 vcc, 15, v2
	s_mov_b32 s4, s38
	v_add_lshl_u32 v64, v7, v1, 2
	v_addc_co_u32_e32 v1, vcc, 0, v1, vcc
	s_lshl_b64 s[54:55], s[4:5], 1
	s_movk_i32 s4, 0x100
	v_lshlrev_b32_e32 v65, 2, v1
	v_lshlrev_b32_e32 v1, 2, v42
	v_cmp_gt_u32_e64 s[8:9], s4, v0
	v_add_u32_e32 v67, 0x1200, v1
	v_add_u32_e32 v68, 0x1280, v1
	;; [unrolled: 1-line block ×5, first 2 shown]
	v_lshlrev_b32_e32 v1, 1, v38
	v_lshlrev_b32_e32 v2, 5, v39
	s_movk_i32 s4, 0x1000
	v_or3_b32 v72, v2, v1, s4
	v_lshl_or_b32 v1, v42, 5, v1
	s_abs_i32 s38, s61
	v_add_u32_e32 v73, 0x1000, v1
	v_cvt_f32_u32_e32 v1, s38
	v_or_b32_e32 v2, 0x1000, v4
	v_or_b32_e32 v74, v2, v3
	v_add_u32_e32 v75, v2, v6
	v_rcp_iflag_f32_e32 v2, v1
	s_sub_i32 s4, 0, s38
	s_ashr_i32 s7, s6, 31
	s_lshl_b64 s[52:53], s[6:7], 7
	v_mul_f32_e32 v2, 0x4f7ffffe, v2
	v_cvt_u32_f32_e32 v2, v2
	v_mov_b32_e32 v45, 0x12c0
	v_mov_b32_e32 v78, 0
	v_lshl_or_b32 v46, v38, 2, v45
	v_mul_lo_u32 v3, s4, v2
	v_mul_hi_u32 v3, v2, v3
	v_add_u32_e32 v76, v2, v3
	v_mov_b32_e32 v2, 0x800
	v_cmp_le_u32_e64 s[10:11], s39, v39
	v_cmp_le_u32_e64 s[12:13], s62, v44
	v_cmp_gt_u32_e64 s[14:15], s62, v44
	v_cmp_le_u32_e64 s[16:17], s62, v43
	v_cmp_gt_u32_e64 s[18:19], s62, v43
	;; [unrolled: 2-line block ×3, first 2 shown]
	v_or_b32_e32 v66, 0x1200, v41
	v_cmp_gt_u32_e64 s[24:25], 64, v0
	v_or_b32_e32 v1, 64, v0
	s_mov_b32 s67, s54
	s_mov_b32 s68, s55
	;; [unrolled: 1-line block ×4, first 2 shown]
	s_sub_i32 s69, s65, s63
	v_add_u32_e32 v77, 0x800, v5
	s_mov_b32 s70, 0x5040100
	s_mov_b32 s71, 0xff800000
	;; [unrolled: 1-line block ×3, first 2 shown]
	s_movk_i32 s73, 0x7fff
	s_mov_b32 s74, 0xffff
	v_lshl_add_u32 v79, v0, 5, v2
	s_mov_b32 s75, 0
	s_mov_b32 s76, s63
	v_mov_b32_e32 v10, 0
	v_mov_b32_e32 v11, v78
	v_mov_b32_e32 v12, v78
	v_mov_b32_e32 v13, v78
	v_mov_b32_e32 v2, 0
	v_mov_b32_e32 v3, v78
	v_mov_b32_e32 v4, v78
	v_mov_b32_e32 v5, v78
	v_mov_b32_e32 v6, 0
	v_mov_b32_e32 v7, v78
	v_mov_b32_e32 v8, v78
	v_mov_b32_e32 v9, v78
	v_mov_b32_e32 v14, 0
	v_mov_b32_e32 v15, v78
	v_mov_b32_e32 v16, v78
	v_mov_b32_e32 v17, v78
	v_or_b32_e32 v80, 0x1280, v41
	v_or_b32_e32 v81, 0x1300, v41
	;; [unrolled: 1-line block ×4, first 2 shown]
	v_mov_b32_e32 v84, 0xff800000
	v_mov_b32_e32 v31, 0
	s_branch .LBB23_79
.LBB23_78:                              ;   in Loop: Header=BB23_79 Depth=1
	s_or_b64 exec, exec, s[4:5]
	v_mul_f32_e32 v10, v10, v85
	v_mul_f32_e32 v11, v11, v86
	;; [unrolled: 1-line block ×16, first 2 shown]
	v_mfma_f32_16x16x16bf16_1k v[10:13], v[18:19], v[20:21], v[10:13]
	s_add_i32 s76, s76, s64
	s_add_i32 s75, s75, 1
	s_sub_i32 s69, s69, s64
	s_cmp_gt_i32 s76, s60
	s_barrier
	v_mfma_f32_16x16x16bf16_1k v[2:5], v[18:19], v[32:33], v[2:5]
	v_mfma_f32_16x16x16bf16_1k v[6:9], v[18:19], v[34:35], v[6:9]
	;; [unrolled: 1-line block ×3, first 2 shown]
	s_cbranch_scc1 .LBB23_236
.LBB23_79:                              ; =>This Loop Header: Depth=1
                                        ;     Child Loop BB23_87 Depth 2
                                        ;     Child Loop BB23_98 Depth 2
	s_sub_i32 s4, s65, s76
	s_min_i32 s77, s4, s64
	v_cmp_le_i32_e64 s[26:27], s77, v38
	v_cmp_gt_i32_e64 s[6:7], s77, v38
	s_mov_b64 s[34:35], 0
                                        ; implicit-def: $vgpr18
	s_and_saveexec_b64 s[4:5], s[6:7]
	s_xor_b64 s[4:5], exec, s[4:5]
	s_cbranch_execnz .LBB23_91
; %bb.80:                               ;   in Loop: Header=BB23_79 Depth=1
	s_andn2_saveexec_b64 s[4:5], s[4:5]
	s_cbranch_execnz .LBB23_235
.LBB23_81:                              ;   in Loop: Header=BB23_79 Depth=1
	s_or_b64 exec, exec, s[4:5]
	s_and_saveexec_b64 s[4:5], s[34:35]
	s_cbranch_execz .LBB23_83
.LBB23_82:                              ;   in Loop: Header=BB23_79 Depth=1
	ds_write_b32 v46, v18
.LBB23_83:                              ;   in Loop: Header=BB23_79 Depth=1
	s_or_b64 exec, exec, s[4:5]
	s_min_i32 s78, s77, 16
	s_lshl_b32 s45, s78, 6
	v_cmp_gt_i32_e32 vcc, s45, v0
	s_waitcnt lgkmcnt(0)
	s_barrier
	s_and_saveexec_b64 s[58:59], vcc
	s_cbranch_execz .LBB23_99
; %bb.84:                               ;   in Loop: Header=BB23_79 Depth=1
	s_mul_i32 s4, s64, s75
	s_add_i32 s4, s63, s4
	s_sub_i32 s4, s65, s4
	v_mov_b32_e32 v18, s4
	v_min3_i32 v18, s64, v18, 16
	v_readfirstlane_b32 s4, v18
	s_add_i32 s4, s4, -1
	s_and_b32 s79, s4, 0x3ffffff
	s_cmp_lg_u32 s79, 0
	s_cbranch_scc0 .LBB23_96
; %bb.85:                               ;   in Loop: Header=BB23_79 Depth=1
	s_add_i32 s80, s79, -1
	s_cmp_lt_u32 s80, 2
	v_pk_mov_b32 v[18:19], v[0:1], v[0:1] op_sel:[0,1]
	s_cbranch_scc1 .LBB23_88
; %bb.86:                               ;   in Loop: Header=BB23_79 Depth=1
	v_mov_b32_e32 v18, s69
	v_min3_i32 v18, s64, v18, 16
	v_readfirstlane_b32 s4, v18
	s_add_i32 s4, s4, -1
	s_and_b32 s4, s4, 0x3ffffff
	s_add_i32 s4, s4, -1
	s_lshr_b32 s4, s4, 1
	s_add_i32 s4, s4, 1
	s_and_b32 s81, s4, -2
	v_pk_mov_b32 v[18:19], v[0:1], v[0:1] op_sel:[0,1]
.LBB23_87:                              ;   Parent Loop BB23_79 Depth=1
                                        ; =>  This Inner Loop Header: Depth=2
	v_lshrrev_b32_e32 v30, 6, v18
	v_add_u32_e32 v34, 0x80, v18
	v_lshl_add_u32 v35, v30, 2, v45
	v_lshrrev_b32_e32 v85, 6, v34
	ds_read2_b32 v[34:35], v35 offset1:1
	v_lshl_add_u32 v36, v85, 2, v45
	ds_read2_b32 v[36:37], v36 offset1:1
	v_pk_mov_b32 v[20:21], s[56:57], s[56:57] op_sel:[0,1]
	v_pk_mov_b32 v[32:33], s[52:53], s[52:53] op_sel:[0,1]
	s_waitcnt lgkmcnt(1)
	v_ashrrev_i32_e32 v90, 31, v34
	v_ashrrev_i32_e32 v91, 31, v35
	v_mad_u64_u32 v[86:87], s[4:5], s67, v35, v[20:21]
	v_mul_lo_u32 v35, s68, v35
	v_mad_u64_u32 v[88:89], s[4:5], s54, v34, v[32:33]
	v_mul_lo_u32 v34, s55, v34
	v_mul_lo_u32 v91, s67, v91
	;; [unrolled: 1-line block ×3, first 2 shown]
	s_waitcnt lgkmcnt(0)
	v_mad_u64_u32 v[20:21], s[4:5], s67, v37, v[20:21]
	v_mad_u64_u32 v[32:33], s[4:5], s54, v36, v[32:33]
	v_ashrrev_i32_e32 v92, 31, v36
	v_ashrrev_i32_e32 v93, 31, v37
	v_mul_lo_u32 v94, s68, v37
	v_mul_lo_u32 v95, s55, v36
	v_add3_u32 v87, v35, v87, v91
	v_add3_u32 v37, v34, v89, v90
	v_add_co_u32_e32 v34, vcc, v53, v86
	v_add_co_u32_e64 v36, s[4:5], v55, v88
	v_add_co_u32_e64 v86, s[34:35], v55, v86
	;; [unrolled: 1-line block ×3, first 2 shown]
	v_mul_lo_u32 v90, s67, v93
	v_mul_lo_u32 v91, s54, v92
	v_addc_co_u32_e64 v89, s[36:37], v54, v37, s[36:37]
	v_addc_co_u32_e32 v35, vcc, v54, v87, vcc
	v_addc_co_u32_e64 v37, vcc, v56, v37, s[4:5]
	v_addc_co_u32_e64 v87, vcc, v56, v87, s[34:35]
	v_add3_u32 v21, v94, v21, v90
	v_add3_u32 v33, v95, v33, v91
	v_add_co_u32_e32 v90, vcc, v53, v32
	v_add_co_u32_e64 v92, s[4:5], v53, v20
	v_add_co_u32_e64 v32, s[34:35], v55, v32
	;; [unrolled: 1-line block ×3, first 2 shown]
	v_addc_co_u32_e32 v91, vcc, v54, v33, vcc
	v_addc_co_u32_e64 v93, vcc, v54, v21, s[4:5]
	v_addc_co_u32_e64 v33, vcc, v56, v33, s[34:35]
	;; [unrolled: 1-line block ×3, first 2 shown]
	global_load_ushort v88, v[88:89], off
	s_nop 0
	global_load_ushort v34, v[34:35], off
	s_nop 0
	;; [unrolled: 2-line block ×6, first 2 shown]
	global_load_ushort v21, v[90:91], off
	global_load_ushort v33, v[92:93], off
	v_lshlrev_b32_e32 v37, 1, v19
	s_add_i32 s81, s81, -2
	v_and_b32_e32 v87, 0xffffff80, v37
	v_add_u32_e32 v37, 0x100, v37
	v_add_u32_e32 v19, 0x100, v19
	;; [unrolled: 1-line block ×3, first 2 shown]
	v_lshl_add_u32 v86, v30, 7, v52
	s_cmp_lg_u32 s81, 0
	v_lshl_add_u32 v89, v85, 7, v52
	v_and_b32_e32 v37, 0xffffff80, v37
	v_lshl_add_u32 v30, v30, 1, v79
	v_add_u32_e32 v87, v87, v52
	v_lshl_add_u32 v85, v85, 1, v79
	v_add_u32_e32 v37, v37, v52
	s_waitcnt vmcnt(2)
	v_perm_b32 v20, v20, v32, s70
	v_perm_b32 v35, v36, v35, s70
	ds_write_b16 v86, v88
	ds_write_b16 v87, v34
	ds_write_b32 v30, v35
	s_waitcnt vmcnt(1)
	ds_write_b16 v89, v21
	s_waitcnt vmcnt(0)
	ds_write_b16 v37, v33
	ds_write_b32 v85, v20
	s_cbranch_scc1 .LBB23_87
.LBB23_88:                              ;   in Loop: Header=BB23_79 Depth=1
	s_bitcmp1_b32 s80, 1
	s_cbranch_scc1 .LBB23_90
; %bb.89:                               ;   in Loop: Header=BB23_79 Depth=1
	v_lshrrev_b32_e32 v18, 6, v18
	v_lshl_add_u32 v20, v18, 2, v45
	ds_read2_b32 v[20:21], v20 offset1:1
	v_mov_b32_e32 v32, s56
	v_mov_b32_e32 v33, s57
	;; [unrolled: 1-line block ×3, first 2 shown]
	v_lshlrev_b32_e32 v19, 1, v19
	s_waitcnt lgkmcnt(0)
	v_ashrrev_i32_e32 v34, 31, v21
	v_mul_lo_u32 v34, s67, v34
	v_mad_u64_u32 v[32:33], s[4:5], s67, v21, v[32:33]
	v_mul_lo_u32 v21, s68, v21
	v_ashrrev_i32_e32 v30, 31, v20
	v_add3_u32 v33, v21, v33, v34
	v_mov_b32_e32 v34, s52
	v_mul_lo_u32 v21, s54, v30
	v_mad_u64_u32 v[34:35], s[4:5], s54, v20, v[34:35]
	v_mul_lo_u32 v20, s55, v20
	v_add3_u32 v30, v20, v35, v21
	v_add_co_u32_e32 v20, vcc, v53, v34
	v_addc_co_u32_e32 v21, vcc, v54, v30, vcc
	v_add_co_u32_e32 v36, vcc, v53, v32
	v_addc_co_u32_e32 v37, vcc, v54, v33, vcc
	;; [unrolled: 2-line block ×4, first 2 shown]
	global_load_ushort v30, v[34:35], off
	s_nop 0
	global_load_ushort v32, v[32:33], off
	s_nop 0
	;; [unrolled: 2-line block ×3, first 2 shown]
	global_load_ushort v21, v[36:37], off
	v_lshl_add_u32 v33, v18, 7, v52
	v_lshlrev_b32_e32 v18, 1, v18
	v_and_b32_e32 v19, 0xffffff80, v19
	v_lshl_add_u32 v18, v0, 5, v18
	v_add_u32_e32 v19, v19, v52
	s_waitcnt vmcnt(1)
	ds_write_b16 v33, v20
	s_waitcnt vmcnt(0)
	ds_write_b16 v19, v21
	v_perm_b32 v30, v32, v30, s70
	ds_write_b32 v18, v30 offset:2048
.LBB23_90:                              ;   in Loop: Header=BB23_79 Depth=1
	s_add_i32 s79, s79, 1
	s_and_b32 s4, s79, 0x7fffffe
	s_cmp_lg_u32 s79, s4
	v_lshl_or_b32 v18, s4, 6, v0
	s_cselect_b64 s[4:5], -1, 0
	s_and_b64 vcc, exec, s[4:5]
	s_cbranch_vccnz .LBB23_97
	s_branch .LBB23_99
.LBB23_91:                              ;   in Loop: Header=BB23_79 Depth=1
	s_andn2_b64 vcc, exec, s[50:51]
	v_add_u32_e32 v18, s76, v38
	s_cbranch_vccnz .LBB23_234
; %bb.92:                               ;   in Loop: Header=BB23_79 Depth=1
	s_and_b64 vcc, exec, s[46:47]
	s_cbranch_vccz .LBB23_231
; %bb.93:                               ;   in Loop: Header=BB23_79 Depth=1
	v_cmp_le_i32_e32 vcc, s61, v18
	v_mov_b32_e32 v19, v18
	s_and_saveexec_b64 s[34:35], vcc
	s_cbranch_execz .LBB23_95
; %bb.94:                               ;   in Loop: Header=BB23_79 Depth=1
	v_sub_u32_e32 v20, 0, v18
	v_max_i32_e32 v20, v18, v20
	v_mul_hi_u32 v21, v20, v76
	v_mul_lo_u32 v21, v21, s38
	v_sub_u32_e32 v20, v20, v21
	v_subrev_u32_e32 v21, s38, v20
	v_cmp_le_u32_e32 vcc, s38, v20
	v_cndmask_b32_e32 v20, v20, v21, vcc
	v_subrev_u32_e32 v21, s38, v20
	v_cmp_le_u32_e32 vcc, s38, v20
	v_ashrrev_i32_e32 v19, 31, v18
	v_cndmask_b32_e32 v20, v20, v21, vcc
	v_xor_b32_e32 v20, v20, v19
	v_sub_u32_e32 v19, v20, v19
.LBB23_95:                              ;   in Loop: Header=BB23_79 Depth=1
	s_or_b64 exec, exec, s[34:35]
	s_cbranch_execz .LBB23_232
	s_branch .LBB23_233
.LBB23_96:                              ;   in Loop: Header=BB23_79 Depth=1
	v_mov_b32_e32 v18, v0
	s_cbranch_execz .LBB23_99
.LBB23_97:                              ;   in Loop: Header=BB23_79 Depth=1
	v_lshrrev_b32_e32 v21, 6, v18
	v_lshl_add_u32 v19, v21, 1, v77
	v_lshl_add_u32 v20, v21, 7, v52
	;; [unrolled: 1-line block ×3, first 2 shown]
	s_mov_b64 s[34:35], 0
.LBB23_98:                              ;   Parent Loop BB23_79 Depth=1
                                        ; =>  This Inner Loop Header: Depth=2
	ds_read_b32 v30, v21
	v_pk_mov_b32 v[32:33], s[52:53], s[52:53] op_sel:[0,1]
	v_add_u32_e32 v18, 64, v18
	v_add_u32_e32 v21, 4, v21
	s_waitcnt lgkmcnt(0)
	v_ashrrev_i32_e32 v34, 31, v30
	v_mad_u64_u32 v[32:33], s[4:5], s54, v30, v[32:33]
	v_mul_lo_u32 v30, s55, v30
	v_mul_lo_u32 v34, s54, v34
	v_add3_u32 v30, v30, v33, v34
	v_add_co_u32_e32 v34, vcc, v55, v32
	v_add_co_u32_e64 v32, s[4:5], v53, v32
	v_addc_co_u32_e64 v33, s[4:5], v54, v30, s[4:5]
	v_addc_co_u32_e32 v35, vcc, v56, v30, vcc
	global_load_ushort v30, v[32:33], off
	s_nop 0
	global_load_ushort v32, v[34:35], off
	v_cmp_le_i32_e32 vcc, s45, v18
	s_or_b64 s[34:35], vcc, s[34:35]
	s_waitcnt vmcnt(1)
	ds_write_b16 v20, v30
	s_waitcnt vmcnt(0)
	ds_write_b16 v19, v32
	v_add_u32_e32 v19, 2, v19
	v_add_u32_e32 v20, 0x80, v20
	s_andn2_b64 exec, exec, s[34:35]
	s_cbranch_execnz .LBB23_98
.LBB23_99:                              ;   in Loop: Header=BB23_79 Depth=1
	s_or_b64 exec, exec, s[58:59]
	v_mov_b32_e32 v34, 0
	v_mov_b32_e32 v18, 0
	;; [unrolled: 1-line block ×3, first 2 shown]
	s_waitcnt lgkmcnt(0)
	s_barrier
	s_and_saveexec_b64 s[4:5], s[6:7]
	s_cbranch_execz .LBB23_103
; %bb.100:                              ;   in Loop: Header=BB23_79 Depth=1
	ds_read_u16 v19, v57 offset:4
	ds_read_b32 v18, v57
	s_waitcnt lgkmcnt(1)
	v_and_b32_e32 v19, 0xffff, v19
	s_and_saveexec_b64 s[34:35], s[8:9]
	s_cbranch_execz .LBB23_102
; %bb.101:                              ;   in Loop: Header=BB23_79 Depth=1
	ds_read_u16 v20, v58
	s_waitcnt lgkmcnt(0)
	v_perm_b32 v19, v20, v19, s70
.LBB23_102:                             ;   in Loop: Header=BB23_79 Depth=1
	s_or_b64 exec, exec, s[34:35]
.LBB23_103:                             ;   in Loop: Header=BB23_79 Depth=1
	s_or_b64 exec, exec, s[4:5]
	s_waitcnt lgkmcnt(0)
	v_mfma_f32_16x16x16bf16_1k v[18:21], v[22:23], v[18:19], 0
	v_mov_b32_e32 v35, 0
	s_and_saveexec_b64 s[4:5], s[6:7]
	s_cbranch_execz .LBB23_107
; %bb.104:                              ;   in Loop: Header=BB23_79 Depth=1
	ds_read_u16 v30, v57 offset:36
	ds_read_b32 v34, v57 offset:32
	s_waitcnt lgkmcnt(1)
	v_and_b32_e32 v35, 0xffff, v30
	s_and_saveexec_b64 s[34:35], s[8:9]
	s_cbranch_execz .LBB23_106
; %bb.105:                              ;   in Loop: Header=BB23_79 Depth=1
	ds_read_u16 v30, v59
	s_waitcnt lgkmcnt(0)
	v_perm_b32 v35, v30, v35, s70
.LBB23_106:                             ;   in Loop: Header=BB23_79 Depth=1
	s_or_b64 exec, exec, s[34:35]
.LBB23_107:                             ;   in Loop: Header=BB23_79 Depth=1
	s_or_b64 exec, exec, s[4:5]
	s_waitcnt lgkmcnt(0)
	v_mfma_f32_16x16x16bf16_1k v[18:21], v[24:25], v[34:35], v[18:21]
	v_mov_b32_e32 v32, 0
	v_mov_b32_e32 v36, 0
	;; [unrolled: 1-line block ×3, first 2 shown]
	s_and_saveexec_b64 s[4:5], s[6:7]
	s_cbranch_execz .LBB23_111
; %bb.108:                              ;   in Loop: Header=BB23_79 Depth=1
	ds_read_u16 v30, v57 offset:68
	ds_read_b32 v36, v57 offset:64
	s_waitcnt lgkmcnt(1)
	v_and_b32_e32 v37, 0xffff, v30
	s_and_saveexec_b64 s[34:35], s[8:9]
	s_cbranch_execz .LBB23_110
; %bb.109:                              ;   in Loop: Header=BB23_79 Depth=1
	ds_read_u16 v30, v60
	s_waitcnt lgkmcnt(0)
	v_perm_b32 v37, v30, v37, s70
.LBB23_110:                             ;   in Loop: Header=BB23_79 Depth=1
	s_or_b64 exec, exec, s[34:35]
.LBB23_111:                             ;   in Loop: Header=BB23_79 Depth=1
	s_or_b64 exec, exec, s[4:5]
	s_waitcnt lgkmcnt(0)
	v_mfma_f32_16x16x16bf16_1k v[18:21], v[26:27], v[36:37], v[18:21]
	s_mov_b64 s[34:35], -1
	s_mov_b64 s[36:37], -1
	v_mov_b32_e32 v33, 0
	s_and_saveexec_b64 s[4:5], s[6:7]
	s_cbranch_execz .LBB23_115
; %bb.112:                              ;   in Loop: Header=BB23_79 Depth=1
	ds_read_u16 v30, v57 offset:100
	ds_read_b32 v32, v57 offset:96
	s_waitcnt lgkmcnt(1)
	v_and_b32_e32 v33, 0xffff, v30
	s_and_saveexec_b64 s[34:35], s[8:9]
	s_cbranch_execz .LBB23_114
; %bb.113:                              ;   in Loop: Header=BB23_79 Depth=1
	ds_read_u16 v30, v61
	s_waitcnt lgkmcnt(0)
	v_perm_b32 v33, v30, v33, s70
.LBB23_114:                             ;   in Loop: Header=BB23_79 Depth=1
	s_or_b64 exec, exec, s[34:35]
	s_orn2_b64 s[36:37], s[16:17], exec
	s_orn2_b64 s[34:35], s[12:13], exec
.LBB23_115:                             ;   in Loop: Header=BB23_79 Depth=1
	s_or_b64 exec, exec, s[4:5]
	s_waitcnt lgkmcnt(0)
	v_mfma_f32_16x16x16bf16_1k v[18:21], v[28:29], v[32:33], v[18:21]
	s_or_b64 s[4:5], s[26:27], s[10:11]
	s_nop 7
	s_nop 1
	v_cndmask_b32_e64 v32, v18, v84, s[4:5]
	v_cndmask_b32_e64 v18, v20, v84, s[36:37]
	ds_bpermute_b32 v20, v62, v32
	v_cndmask_b32_e64 v19, v19, v84, s[34:35]
	s_or_b64 s[34:35], s[26:27], s[20:21]
	v_cndmask_b32_e64 v30, v21, v84, s[34:35]
	v_max_f32_e32 v21, v32, v32
	s_waitcnt lgkmcnt(0)
	v_max_f32_e32 v20, v20, v20
	v_max_f32_e32 v20, v21, v20
	ds_bpermute_b32 v21, v63, v20
	ds_bpermute_b32 v33, v62, v19
	v_max_f32_e32 v34, v19, v19
	ds_bpermute_b32 v35, v62, v18
	ds_bpermute_b32 v37, v62, v30
	s_waitcnt lgkmcnt(3)
	v_max_f32_e32 v21, v21, v21
	v_max_f32_e32 v20, v20, v21
	ds_bpermute_b32 v21, v64, v20
	s_waitcnt lgkmcnt(3)
	v_max_f32_e32 v33, v33, v33
	v_max_f32_e32 v33, v34, v33
	ds_bpermute_b32 v34, v63, v33
	v_max_f32_e32 v36, v18, v18
	s_waitcnt lgkmcnt(1)
	v_max_f32_e32 v21, v21, v21
	v_max_f32_e32 v20, v20, v21
	ds_bpermute_b32 v21, v65, v20
	s_waitcnt lgkmcnt(1)
	v_max_f32_e32 v34, v34, v34
	v_max_f32_e32 v35, v35, v35
	;; [unrolled: 1-line block ×4, first 2 shown]
	s_waitcnt lgkmcnt(0)
	v_max_f32_e32 v21, v21, v21
	ds_bpermute_b32 v34, v64, v33
	v_max_f32_e32 v20, v20, v21
	v_max_f32_e32 v21, v30, v30
	;; [unrolled: 1-line block ×3, first 2 shown]
	ds_bpermute_b32 v36, v63, v35
	v_max_f32_e32 v21, v21, v37
	ds_bpermute_b32 v37, v63, v21
	s_waitcnt lgkmcnt(2)
	v_max_f32_e32 v34, v34, v34
	v_max_f32_e32 v33, v33, v34
	s_waitcnt lgkmcnt(1)
	v_max_f32_e32 v36, v36, v36
	ds_bpermute_b32 v34, v65, v33
	v_max_f32_e32 v35, v35, v36
	s_waitcnt lgkmcnt(1)
	v_max_f32_e32 v37, v37, v37
	ds_bpermute_b32 v36, v64, v35
	v_max_f32_e32 v21, v21, v37
	ds_bpermute_b32 v37, v64, v21
	s_waitcnt lgkmcnt(2)
	v_max_f32_e32 v34, v34, v34
	v_max_f32_e32 v33, v33, v34
	s_waitcnt lgkmcnt(1)
	v_max_f32_e32 v34, v36, v36
	v_max_f32_e32 v35, v35, v34
	s_waitcnt lgkmcnt(0)
	v_max_f32_e32 v34, v37, v37
	ds_bpermute_b32 v36, v65, v35
	v_max_f32_e32 v21, v21, v34
	ds_bpermute_b32 v37, v65, v21
	ds_bpermute_b32 v34, v47, v33
	;; [unrolled: 1-line block ×3, first 2 shown]
	s_waitcnt lgkmcnt(3)
	v_max_f32_e32 v33, v36, v36
	v_max_f32_e32 v33, v35, v33
	s_waitcnt lgkmcnt(2)
	v_max_f32_e32 v35, v37, v37
	v_max_f32_e32 v21, v21, v35
	ds_bpermute_b32 v33, v47, v33
	ds_bpermute_b32 v21, v47, v21
	s_and_saveexec_b64 s[36:37], s[28:29]
	s_cbranch_execz .LBB23_118
; %bb.116:                              ;   in Loop: Header=BB23_79 Depth=1
	ds_read_b96 v[86:88], v80
	s_waitcnt lgkmcnt(4)
	v_max_f32_e32 v34, v34, v34
	s_waitcnt lgkmcnt(3)
	v_max_f32_e32 v20, v20, v20
	;; [unrolled: 2-line block ×3, first 2 shown]
	v_max_f32_e32 v36, v86, v86
	v_max_f32_e32 v35, v35, v34
	v_max_f32_e32 v34, v36, v20
	v_max_f32_e32 v20, v33, v33
	v_max_f32_e32 v33, v88, v88
	v_max_f32_e32 v36, v33, v20
	ds_write_b96 v66, v[86:88]
	ds_write_b96 v80, v[34:36]
	s_and_b64 exec, exec, s[24:25]
	s_cbranch_execz .LBB23_118
; %bb.117:                              ;   in Loop: Header=BB23_79 Depth=1
	ds_read_b32 v20, v68
	v_max_f32_e32 v21, v21, v21
	s_waitcnt lgkmcnt(0)
	ds_write_b32 v67, v20
	v_max_f32_e32 v20, v20, v20
	v_max_f32_e32 v20, v20, v21
	ds_write_b32 v68, v20
.LBB23_118:                             ;   in Loop: Header=BB23_79 Depth=1
	s_or_b64 exec, exec, s[36:37]
	s_waitcnt lgkmcnt(2)
	v_mov_b32_e32 v20, 0
	s_waitcnt lgkmcnt(0)
	v_mov_b32_e32 v21, 0
	s_barrier
	s_and_saveexec_b64 s[36:37], s[6:7]
	s_cbranch_execz .LBB23_120
; %bb.119:                              ;   in Loop: Header=BB23_79 Depth=1
	ds_read_b32 v21, v80
	s_waitcnt lgkmcnt(0)
	v_sub_f32_e32 v32, v32, v21
	v_mul_f32_e32 v32, 0x3fb8aa3b, v32
	v_exp_f32_e32 v32, v32
	v_cmp_lg_f32_e32 vcc, s71, v21
	s_and_b64 vcc, s[30:31], vcc
	v_cndmask_b32_e32 v21, 0, v32, vcc
.LBB23_120:                             ;   in Loop: Header=BB23_79 Depth=1
	s_or_b64 exec, exec, s[36:37]
	ds_bpermute_b32 v32, v62, v21
	s_waitcnt lgkmcnt(0)
	v_add_f32_e32 v32, v21, v32
	ds_bpermute_b32 v33, v63, v32
	s_waitcnt lgkmcnt(0)
	v_add_f32_e32 v32, v32, v33
	;; [unrolled: 3-line block ×4, first 2 shown]
	ds_bpermute_b32 v34, v47, v32
	s_and_saveexec_b64 s[36:37], s[6:7]
	s_cbranch_execz .LBB23_122
; %bb.121:                              ;   in Loop: Header=BB23_79 Depth=1
	ds_read_b32 v20, v80 offset:4
	s_waitcnt lgkmcnt(0)
	v_sub_f32_e32 v19, v19, v20
	v_mul_f32_e32 v19, 0x3fb8aa3b, v19
	v_exp_f32_e32 v19, v19
	v_cmp_lg_f32_e32 vcc, s71, v20
	s_and_b64 vcc, s[14:15], vcc
	v_cndmask_b32_e32 v20, 0, v19, vcc
.LBB23_122:                             ;   in Loop: Header=BB23_79 Depth=1
	s_or_b64 exec, exec, s[36:37]
	ds_bpermute_b32 v19, v62, v20
	s_waitcnt lgkmcnt(0)
	v_add_f32_e32 v19, v20, v19
	ds_bpermute_b32 v32, v63, v19
	s_waitcnt lgkmcnt(0)
	v_add_f32_e32 v19, v19, v32
	;; [unrolled: 3-line block ×4, first 2 shown]
	ds_bpermute_b32 v33, v47, v19
	v_mov_b32_e32 v19, 0
	s_and_saveexec_b64 s[36:37], s[6:7]
	s_cbranch_execz .LBB23_124
; %bb.123:                              ;   in Loop: Header=BB23_79 Depth=1
	ds_read_b32 v19, v80 offset:8
	s_waitcnt lgkmcnt(0)
	v_sub_f32_e32 v18, v18, v19
	v_mul_f32_e32 v18, 0x3fb8aa3b, v18
	v_exp_f32_e32 v18, v18
	v_cmp_lg_f32_e32 vcc, s71, v19
	s_and_b64 vcc, s[18:19], vcc
	v_cndmask_b32_e32 v19, 0, v18, vcc
.LBB23_124:                             ;   in Loop: Header=BB23_79 Depth=1
	s_or_b64 exec, exec, s[36:37]
	ds_bpermute_b32 v18, v62, v19
	v_mov_b32_e32 v35, 0xff800000
	s_waitcnt lgkmcnt(0)
	v_add_f32_e32 v18, v19, v18
	ds_bpermute_b32 v32, v63, v18
	s_waitcnt lgkmcnt(0)
	v_add_f32_e32 v18, v18, v32
	ds_bpermute_b32 v32, v64, v18
	;; [unrolled: 3-line block ×4, first 2 shown]
	s_and_saveexec_b64 s[36:37], s[24:25]
	s_cbranch_execz .LBB23_126
; %bb.125:                              ;   in Loop: Header=BB23_79 Depth=1
	ds_read_b32 v35, v68
.LBB23_126:                             ;   in Loop: Header=BB23_79 Depth=1
	s_or_b64 exec, exec, s[36:37]
	v_mov_b32_e32 v18, 0
	s_and_saveexec_b64 s[36:37], s[6:7]
	s_cbranch_execz .LBB23_128
; %bb.127:                              ;   in Loop: Header=BB23_79 Depth=1
	s_waitcnt lgkmcnt(0)
	v_sub_f32_e32 v18, v30, v35
	v_mul_f32_e32 v18, 0x3fb8aa3b, v18
	v_exp_f32_e32 v18, v18
	v_cmp_lg_f32_e32 vcc, s71, v35
	s_and_b64 vcc, s[22:23], vcc
	v_cndmask_b32_e32 v18, 0, v18, vcc
.LBB23_128:                             ;   in Loop: Header=BB23_79 Depth=1
	s_or_b64 exec, exec, s[36:37]
	ds_bpermute_b32 v30, v62, v18
	s_waitcnt lgkmcnt(0)
	v_add_f32_e32 v30, v18, v30
	ds_bpermute_b32 v35, v63, v30
	s_waitcnt lgkmcnt(0)
	v_add_f32_e32 v30, v30, v35
	ds_bpermute_b32 v35, v64, v30
	s_waitcnt lgkmcnt(0)
	v_add_f32_e32 v30, v30, v35
	ds_bpermute_b32 v35, v65, v30
	s_waitcnt lgkmcnt(0)
	v_add_f32_e32 v30, v30, v35
	ds_bpermute_b32 v30, v47, v30
	s_and_saveexec_b64 s[36:37], s[28:29]
	s_cbranch_execz .LBB23_155
; %bb.129:                              ;   in Loop: Header=BB23_79 Depth=1
	s_and_saveexec_b64 s[6:7], s[10:11]
	s_xor_b64 s[6:7], exec, s[6:7]
	s_cbranch_execnz .LBB23_137
; %bb.130:                              ;   in Loop: Header=BB23_79 Depth=1
	s_andn2_saveexec_b64 s[58:59], s[6:7]
	s_cbranch_execnz .LBB23_138
.LBB23_131:                             ;   in Loop: Header=BB23_79 Depth=1
	s_or_b64 exec, exec, s[58:59]
	s_and_saveexec_b64 s[6:7], s[12:13]
	s_xor_b64 s[6:7], exec, s[6:7]
	s_cbranch_execnz .LBB23_141
.LBB23_132:                             ;   in Loop: Header=BB23_79 Depth=1
	s_andn2_saveexec_b64 s[58:59], s[6:7]
	s_cbranch_execnz .LBB23_142
.LBB23_133:                             ;   in Loop: Header=BB23_79 Depth=1
	s_or_b64 exec, exec, s[58:59]
	s_and_saveexec_b64 s[6:7], s[16:17]
	s_xor_b64 s[6:7], exec, s[6:7]
	s_cbranch_execnz .LBB23_145
.LBB23_134:                             ;   in Loop: Header=BB23_79 Depth=1
	s_andn2_saveexec_b64 s[58:59], s[6:7]
	s_cbranch_execnz .LBB23_146
.LBB23_135:                             ;   in Loop: Header=BB23_79 Depth=1
	s_or_b64 exec, exec, s[58:59]
	s_and_saveexec_b64 s[6:7], s[20:21]
	s_xor_b64 s[6:7], exec, s[6:7]
	s_cbranch_execnz .LBB23_149
.LBB23_136:                             ;   in Loop: Header=BB23_79 Depth=1
	s_andn2_saveexec_b64 s[6:7], s[6:7]
	s_cbranch_execnz .LBB23_152
	s_branch .LBB23_155
.LBB23_137:                             ;   in Loop: Header=BB23_79 Depth=1
	ds_write_b32 v82, v31
	ds_write_b32 v81, v31
                                        ; implicit-def: $vgpr34
	s_andn2_saveexec_b64 s[58:59], s[6:7]
	s_cbranch_execz .LBB23_131
.LBB23_138:                             ;   in Loop: Header=BB23_79 Depth=1
	ds_read_b32 v37, v66
	ds_read_b32 v35, v83
	v_mov_b32_e32 v36, 0
	s_waitcnt lgkmcnt(1)
	v_cmp_neq_f32_e32 vcc, s71, v37
	s_and_saveexec_b64 s[6:7], vcc
	s_cbranch_execz .LBB23_140
; %bb.139:                              ;   in Loop: Header=BB23_79 Depth=1
	ds_read_b32 v36, v80
	s_waitcnt lgkmcnt(0)
	v_sub_f32_e32 v36, v37, v36
	v_mul_f32_e32 v36, 0x3fb8aa3b, v36
	v_exp_f32_e32 v36, v36
.LBB23_140:                             ;   in Loop: Header=BB23_79 Depth=1
	s_or_b64 exec, exec, s[6:7]
	s_waitcnt lgkmcnt(0)
	v_mul_f32_e32 v37, v35, v36
	v_fmac_f32_e32 v34, v35, v36
	v_div_scale_f32 v35, s[6:7], v34, v34, v37
	v_rcp_f32_e32 v36, v35
	v_fma_f32 v85, -v35, v36, 1.0
	v_fmac_f32_e32 v36, v85, v36
	v_div_scale_f32 v85, vcc, v37, v34, v37
	v_mul_f32_e32 v86, v85, v36
	v_fma_f32 v87, -v35, v86, v85
	v_fmac_f32_e32 v86, v87, v36
	v_fma_f32 v35, -v35, v86, v85
	v_div_fmas_f32 v35, v35, v36, v86
	v_div_scale_f32 v36, s[6:7], v34, v34, 1.0
	v_rcp_f32_e32 v85, v36
	v_div_fixup_f32 v35, v35, v34, v37
	v_cmp_lt_f32_e64 s[6:7], 0, v34
	v_cndmask_b32_e64 v35, 0, v35, s[6:7]
	v_fma_f32 v37, -v36, v85, 1.0
	v_fmac_f32_e32 v85, v37, v85
	v_div_scale_f32 v37, vcc, 1.0, v34, 1.0
	v_mul_f32_e32 v86, v37, v85
	v_fma_f32 v87, -v36, v86, v37
	v_fmac_f32_e32 v86, v87, v85
	v_fma_f32 v36, -v36, v86, v37
	v_div_fmas_f32 v36, v36, v85, v86
	v_div_fixup_f32 v36, v36, v34, 1.0
	v_cndmask_b32_e64 v36, 0, v36, s[6:7]
	ds_write_b32 v82, v35
	ds_write_b32 v81, v36
	;; [unrolled: 1-line block ×3, first 2 shown]
	s_or_b64 exec, exec, s[58:59]
	s_and_saveexec_b64 s[6:7], s[12:13]
	s_xor_b64 s[6:7], exec, s[6:7]
	s_cbranch_execz .LBB23_132
.LBB23_141:                             ;   in Loop: Header=BB23_79 Depth=1
	ds_write_b32 v82, v31 offset:4
	ds_write_b32 v81, v31 offset:4
                                        ; implicit-def: $vgpr33
	s_andn2_saveexec_b64 s[58:59], s[6:7]
	s_cbranch_execz .LBB23_133
.LBB23_142:                             ;   in Loop: Header=BB23_79 Depth=1
	ds_read_b32 v36, v66 offset:4
	ds_read_b32 v34, v83 offset:4
	v_mov_b32_e32 v35, 0
	s_waitcnt lgkmcnt(1)
	v_cmp_neq_f32_e32 vcc, s71, v36
	s_and_saveexec_b64 s[6:7], vcc
	s_cbranch_execz .LBB23_144
; %bb.143:                              ;   in Loop: Header=BB23_79 Depth=1
	ds_read_b32 v35, v80 offset:4
	s_waitcnt lgkmcnt(0)
	v_sub_f32_e32 v35, v36, v35
	v_mul_f32_e32 v35, 0x3fb8aa3b, v35
	v_exp_f32_e32 v35, v35
.LBB23_144:                             ;   in Loop: Header=BB23_79 Depth=1
	s_or_b64 exec, exec, s[6:7]
	s_waitcnt lgkmcnt(0)
	v_mul_f32_e32 v36, v34, v35
	v_fmac_f32_e32 v33, v34, v35
	v_div_scale_f32 v34, s[6:7], v33, v33, v36
	v_rcp_f32_e32 v35, v34
	v_fma_f32 v37, -v34, v35, 1.0
	v_fmac_f32_e32 v35, v37, v35
	v_div_scale_f32 v37, vcc, v36, v33, v36
	v_mul_f32_e32 v85, v37, v35
	v_fma_f32 v86, -v34, v85, v37
	v_fmac_f32_e32 v85, v86, v35
	v_fma_f32 v34, -v34, v85, v37
	v_div_fmas_f32 v34, v34, v35, v85
	v_div_scale_f32 v35, s[6:7], v33, v33, 1.0
	v_rcp_f32_e32 v37, v35
	v_div_fixup_f32 v34, v34, v33, v36
	v_cmp_lt_f32_e64 s[6:7], 0, v33
	v_cndmask_b32_e64 v34, 0, v34, s[6:7]
	v_fma_f32 v36, -v35, v37, 1.0
	v_fmac_f32_e32 v37, v36, v37
	v_div_scale_f32 v36, vcc, 1.0, v33, 1.0
	v_mul_f32_e32 v85, v36, v37
	v_fma_f32 v86, -v35, v85, v36
	v_fmac_f32_e32 v85, v86, v37
	v_fma_f32 v35, -v35, v85, v36
	v_div_fmas_f32 v35, v35, v37, v85
	v_div_fixup_f32 v35, v35, v33, 1.0
	v_cndmask_b32_e64 v35, 0, v35, s[6:7]
	ds_write_b32 v82, v34 offset:4
	ds_write_b32 v81, v35 offset:4
	;; [unrolled: 1-line block ×3, first 2 shown]
	s_or_b64 exec, exec, s[58:59]
	s_and_saveexec_b64 s[6:7], s[16:17]
	s_xor_b64 s[6:7], exec, s[6:7]
	s_cbranch_execz .LBB23_134
.LBB23_145:                             ;   in Loop: Header=BB23_79 Depth=1
	ds_write_b32 v82, v31 offset:8
	ds_write_b32 v81, v31 offset:8
                                        ; implicit-def: $vgpr32
	s_andn2_saveexec_b64 s[58:59], s[6:7]
	s_cbranch_execz .LBB23_135
.LBB23_146:                             ;   in Loop: Header=BB23_79 Depth=1
	ds_read_b32 v35, v66 offset:8
	ds_read_b32 v33, v83 offset:8
	v_mov_b32_e32 v34, 0
	s_waitcnt lgkmcnt(1)
	v_cmp_neq_f32_e32 vcc, s71, v35
	s_and_saveexec_b64 s[6:7], vcc
	s_cbranch_execz .LBB23_148
; %bb.147:                              ;   in Loop: Header=BB23_79 Depth=1
	ds_read_b32 v34, v80 offset:8
	s_waitcnt lgkmcnt(0)
	v_sub_f32_e32 v34, v35, v34
	v_mul_f32_e32 v34, 0x3fb8aa3b, v34
	v_exp_f32_e32 v34, v34
.LBB23_148:                             ;   in Loop: Header=BB23_79 Depth=1
	s_or_b64 exec, exec, s[6:7]
	s_waitcnt lgkmcnt(0)
	v_mul_f32_e32 v35, v33, v34
	v_fmac_f32_e32 v32, v33, v34
	v_div_scale_f32 v33, s[6:7], v32, v32, v35
	v_rcp_f32_e32 v34, v33
	v_fma_f32 v36, -v33, v34, 1.0
	v_fmac_f32_e32 v34, v36, v34
	v_div_scale_f32 v36, vcc, v35, v32, v35
	v_mul_f32_e32 v37, v36, v34
	v_fma_f32 v85, -v33, v37, v36
	v_fmac_f32_e32 v37, v85, v34
	v_fma_f32 v33, -v33, v37, v36
	v_div_fmas_f32 v33, v33, v34, v37
	v_div_scale_f32 v34, s[6:7], v32, v32, 1.0
	v_rcp_f32_e32 v36, v34
	v_div_fixup_f32 v33, v33, v32, v35
	v_cmp_lt_f32_e64 s[6:7], 0, v32
	v_cndmask_b32_e64 v33, 0, v33, s[6:7]
	v_fma_f32 v35, -v34, v36, 1.0
	v_fmac_f32_e32 v36, v35, v36
	v_div_scale_f32 v35, vcc, 1.0, v32, 1.0
	v_mul_f32_e32 v37, v35, v36
	v_fma_f32 v85, -v34, v37, v35
	v_fmac_f32_e32 v37, v85, v36
	v_fma_f32 v34, -v34, v37, v35
	v_div_fmas_f32 v34, v34, v36, v37
	v_div_fixup_f32 v34, v34, v32, 1.0
	v_cndmask_b32_e64 v34, 0, v34, s[6:7]
	ds_write_b32 v82, v33 offset:8
	ds_write_b32 v81, v34 offset:8
	;; [unrolled: 1-line block ×3, first 2 shown]
	s_or_b64 exec, exec, s[58:59]
	s_and_saveexec_b64 s[6:7], s[20:21]
	s_xor_b64 s[6:7], exec, s[6:7]
	s_cbranch_execz .LBB23_136
.LBB23_149:                             ;   in Loop: Header=BB23_79 Depth=1
	s_and_saveexec_b64 s[58:59], s[24:25]
	s_cbranch_execz .LBB23_151
; %bb.150:                              ;   in Loop: Header=BB23_79 Depth=1
	ds_write_b32 v70, v31
	ds_write_b32 v69, v31
.LBB23_151:                             ;   in Loop: Header=BB23_79 Depth=1
	s_or_b64 exec, exec, s[58:59]
                                        ; implicit-def: $vgpr30
	s_andn2_saveexec_b64 s[6:7], s[6:7]
	s_cbranch_execz .LBB23_155
.LBB23_152:                             ;   in Loop: Header=BB23_79 Depth=1
	ds_read_b32 v34, v67
	ds_read_b32 v32, v71
	v_mov_b32_e32 v33, 0
	s_waitcnt lgkmcnt(1)
	v_cmp_neq_f32_e32 vcc, s71, v34
	s_and_saveexec_b64 s[6:7], vcc
	s_cbranch_execz .LBB23_154
; %bb.153:                              ;   in Loop: Header=BB23_79 Depth=1
	ds_read_b32 v33, v68
	s_waitcnt lgkmcnt(0)
	v_sub_f32_e32 v33, v34, v33
	v_mul_f32_e32 v33, 0x3fb8aa3b, v33
	v_exp_f32_e32 v33, v33
.LBB23_154:                             ;   in Loop: Header=BB23_79 Depth=1
	s_or_b64 exec, exec, s[6:7]
	s_waitcnt lgkmcnt(0)
	v_mul_f32_e32 v34, v32, v33
	v_fmac_f32_e32 v30, v32, v33
	v_div_scale_f32 v32, s[6:7], v30, v30, v34
	v_rcp_f32_e32 v33, v32
	v_fma_f32 v35, -v32, v33, 1.0
	v_fmac_f32_e32 v33, v35, v33
	v_div_scale_f32 v35, vcc, v34, v30, v34
	v_mul_f32_e32 v36, v35, v33
	v_fma_f32 v37, -v32, v36, v35
	v_fmac_f32_e32 v36, v37, v33
	v_fma_f32 v32, -v32, v36, v35
	v_div_fmas_f32 v32, v32, v33, v36
	v_div_scale_f32 v33, s[6:7], v30, v30, 1.0
	v_rcp_f32_e32 v35, v33
	v_div_fixup_f32 v32, v32, v30, v34
	v_cmp_lt_f32_e64 s[6:7], 0, v30
	v_cndmask_b32_e64 v32, 0, v32, s[6:7]
	v_fma_f32 v34, -v33, v35, 1.0
	v_fmac_f32_e32 v35, v34, v35
	v_div_scale_f32 v34, vcc, 1.0, v30, 1.0
	v_mul_f32_e32 v36, v34, v35
	v_fma_f32 v37, -v33, v36, v34
	v_fmac_f32_e32 v36, v37, v35
	v_fma_f32 v33, -v33, v36, v34
	v_div_fmas_f32 v33, v33, v35, v36
	v_div_fixup_f32 v33, v33, v30, 1.0
	v_cndmask_b32_e64 v33, 0, v33, s[6:7]
	ds_write_b32 v70, v32
	ds_write_b32 v69, v33
	;; [unrolled: 1-line block ×3, first 2 shown]
.LBB23_155:                             ;   in Loop: Header=BB23_79 Depth=1
	s_or_b64 exec, exec, s[36:37]
	s_xor_b64 s[6:7], s[4:5], -1
	s_xor_b64 s[4:5], s[34:35], -1
	s_waitcnt lgkmcnt(0)
	v_mov_b32_e32 v30, 0
	v_mov_b32_e32 v85, 0
	s_barrier
	s_and_saveexec_b64 s[34:35], s[30:31]
	s_cbranch_execz .LBB23_157
; %bb.156:                              ;   in Loop: Header=BB23_79 Depth=1
	ds_read_b32 v85, v82
.LBB23_157:                             ;   in Loop: Header=BB23_79 Depth=1
	s_or_b64 exec, exec, s[34:35]
	s_and_saveexec_b64 s[34:35], s[6:7]
	s_cbranch_execz .LBB23_159
; %bb.158:                              ;   in Loop: Header=BB23_79 Depth=1
	ds_read_b32 v30, v81
	s_waitcnt lgkmcnt(0)
	v_mul_f32_e32 v30, v21, v30
.LBB23_159:                             ;   in Loop: Header=BB23_79 Depth=1
	s_or_b64 exec, exec, s[34:35]
	v_and_b32_e32 v21, 0x7f800000, v30
	v_cmp_ne_u32_e32 vcc, s72, v21
                                        ; implicit-def: $vgpr21
	s_and_saveexec_b64 s[6:7], vcc
	s_xor_b64 s[6:7], exec, s[6:7]
; %bb.160:                              ;   in Loop: Header=BB23_79 Depth=1
	v_bfe_u32 v21, v30, 16, 1
	v_add3_u32 v21, v30, v21, s73
                                        ; implicit-def: $vgpr30
; %bb.161:                              ;   in Loop: Header=BB23_79 Depth=1
	s_andn2_saveexec_b64 s[6:7], s[6:7]
; %bb.162:                              ;   in Loop: Header=BB23_79 Depth=1
	v_or_b32_e32 v21, 0x10000, v30
	v_cmp_eq_u32_sdwa vcc, v30, v78 src0_sel:WORD_0 src1_sel:DWORD
	v_cndmask_b32_e32 v21, v21, v30, vcc
; %bb.163:                              ;   in Loop: Header=BB23_79 Depth=1
	s_or_b64 exec, exec, s[6:7]
	ds_write_b16_d16_hi v72, v21
	v_mov_b32_e32 v21, 0
	v_mov_b32_e32 v86, 0
	s_and_saveexec_b64 s[6:7], s[14:15]
	s_cbranch_execz .LBB23_165
; %bb.164:                              ;   in Loop: Header=BB23_79 Depth=1
	ds_read_b32 v86, v82 offset:4
.LBB23_165:                             ;   in Loop: Header=BB23_79 Depth=1
	s_or_b64 exec, exec, s[6:7]
	s_or_b64 s[6:7], s[26:27], s[12:13]
	s_xor_b64 s[34:35], s[6:7], -1
	s_and_saveexec_b64 s[6:7], s[34:35]
	s_cbranch_execz .LBB23_167
; %bb.166:                              ;   in Loop: Header=BB23_79 Depth=1
	ds_read_b32 v21, v81 offset:4
	s_waitcnt lgkmcnt(0)
	v_mul_f32_e32 v21, v20, v21
.LBB23_167:                             ;   in Loop: Header=BB23_79 Depth=1
	s_or_b64 exec, exec, s[6:7]
	v_and_b32_e32 v20, 0x7f800000, v21
	v_cmp_ne_u32_e32 vcc, s72, v20
                                        ; implicit-def: $vgpr20
	s_and_saveexec_b64 s[6:7], vcc
	s_xor_b64 s[6:7], exec, s[6:7]
; %bb.168:                              ;   in Loop: Header=BB23_79 Depth=1
	v_bfe_u32 v20, v21, 16, 1
	v_add3_u32 v20, v21, v20, s73
                                        ; implicit-def: $vgpr21
; %bb.169:                              ;   in Loop: Header=BB23_79 Depth=1
	s_andn2_saveexec_b64 s[6:7], s[6:7]
; %bb.170:                              ;   in Loop: Header=BB23_79 Depth=1
	v_or_b32_e32 v20, 0x10000, v21
	v_cmp_eq_u32_sdwa vcc, v21, v78 src0_sel:WORD_0 src1_sel:DWORD
	v_cndmask_b32_e32 v20, v20, v21, vcc
; %bb.171:                              ;   in Loop: Header=BB23_79 Depth=1
	s_or_b64 exec, exec, s[6:7]
	ds_write_b16_d16_hi v72, v20 offset:32
	v_mov_b32_e32 v20, 0
	v_mov_b32_e32 v87, 0
	s_and_saveexec_b64 s[6:7], s[18:19]
	s_cbranch_execz .LBB23_173
; %bb.172:                              ;   in Loop: Header=BB23_79 Depth=1
	ds_read_b32 v87, v82 offset:8
.LBB23_173:                             ;   in Loop: Header=BB23_79 Depth=1
	s_or_b64 exec, exec, s[6:7]
	s_or_b64 s[6:7], s[26:27], s[16:17]
	s_xor_b64 s[26:27], s[6:7], -1
	s_and_saveexec_b64 s[6:7], s[26:27]
	s_cbranch_execz .LBB23_175
; %bb.174:                              ;   in Loop: Header=BB23_79 Depth=1
	ds_read_b32 v20, v81 offset:8
	s_waitcnt lgkmcnt(0)
	v_mul_f32_e32 v20, v19, v20
.LBB23_175:                             ;   in Loop: Header=BB23_79 Depth=1
	s_or_b64 exec, exec, s[6:7]
	v_and_b32_e32 v19, 0x7f800000, v20
	v_cmp_ne_u32_e32 vcc, s72, v19
                                        ; implicit-def: $vgpr19
	s_and_saveexec_b64 s[6:7], vcc
	s_xor_b64 s[6:7], exec, s[6:7]
; %bb.176:                              ;   in Loop: Header=BB23_79 Depth=1
	v_bfe_u32 v19, v20, 16, 1
	v_add3_u32 v19, v20, v19, s73
                                        ; implicit-def: $vgpr20
; %bb.177:                              ;   in Loop: Header=BB23_79 Depth=1
	s_andn2_saveexec_b64 s[6:7], s[6:7]
; %bb.178:                              ;   in Loop: Header=BB23_79 Depth=1
	v_or_b32_e32 v19, 0x10000, v20
	v_cmp_eq_u32_sdwa vcc, v20, v78 src0_sel:WORD_0 src1_sel:DWORD
	v_cndmask_b32_e32 v19, v19, v20, vcc
; %bb.179:                              ;   in Loop: Header=BB23_79 Depth=1
	s_or_b64 exec, exec, s[6:7]
	ds_write_b16_d16_hi v72, v19 offset:64
	v_mov_b32_e32 v19, 0
	v_mov_b32_e32 v88, 0
	s_and_saveexec_b64 s[6:7], s[22:23]
	s_cbranch_execnz .LBB23_182
; %bb.180:                              ;   in Loop: Header=BB23_79 Depth=1
	s_or_b64 exec, exec, s[6:7]
	s_and_saveexec_b64 s[6:7], s[4:5]
	s_cbranch_execnz .LBB23_183
.LBB23_181:                             ;   in Loop: Header=BB23_79 Depth=1
	s_or_b64 exec, exec, s[6:7]
	s_and_saveexec_b64 s[4:5], s[24:25]
	s_cbranch_execnz .LBB23_184
	s_branch .LBB23_189
.LBB23_182:                             ;   in Loop: Header=BB23_79 Depth=1
	ds_read_b32 v88, v70
	s_or_b64 exec, exec, s[6:7]
	s_and_saveexec_b64 s[6:7], s[4:5]
	s_cbranch_execz .LBB23_181
.LBB23_183:                             ;   in Loop: Header=BB23_79 Depth=1
	ds_read_b32 v19, v69
	s_waitcnt lgkmcnt(0)
	v_mul_f32_e32 v19, v18, v19
	s_or_b64 exec, exec, s[6:7]
	s_and_saveexec_b64 s[4:5], s[24:25]
	s_cbranch_execz .LBB23_189
.LBB23_184:                             ;   in Loop: Header=BB23_79 Depth=1
	v_and_b32_e32 v18, 0x7f800000, v19
	v_cmp_ne_u32_e32 vcc, s72, v18
                                        ; implicit-def: $vgpr18
	s_and_saveexec_b64 s[6:7], vcc
	s_xor_b64 s[6:7], exec, s[6:7]
; %bb.185:                              ;   in Loop: Header=BB23_79 Depth=1
	v_bfe_u32 v18, v19, 16, 1
	v_add3_u32 v18, v19, v18, s73
                                        ; implicit-def: $vgpr19
; %bb.186:                              ;   in Loop: Header=BB23_79 Depth=1
	s_andn2_saveexec_b64 s[6:7], s[6:7]
; %bb.187:                              ;   in Loop: Header=BB23_79 Depth=1
	v_or_b32_e32 v18, 0x10000, v19
	v_cmp_eq_u32_sdwa vcc, v19, v78 src0_sel:WORD_0 src1_sel:DWORD
	v_cndmask_b32_e32 v18, v18, v19, vcc
; %bb.188:                              ;   in Loop: Header=BB23_79 Depth=1
	s_or_b64 exec, exec, s[6:7]
	ds_write_b16_d16_hi v73, v18
.LBB23_189:                             ;   in Loop: Header=BB23_79 Depth=1
	s_or_b64 exec, exec, s[4:5]
	s_mov_b32 s45, s44
	v_pk_mov_b32 v[18:19], s[44:45], s[44:45] op_sel:[0,1]
	s_waitcnt lgkmcnt(0)
	s_barrier
	s_and_saveexec_b64 s[4:5], s[2:3]
	s_cbranch_execz .LBB23_196
; %bb.190:                              ;   in Loop: Header=BB23_79 Depth=1
	v_cmp_gt_i32_e32 vcc, s77, v39
	v_pk_mov_b32 v[18:19], s[44:45], s[44:45] op_sel:[0,1]
	s_and_saveexec_b64 s[6:7], vcc
	s_cbranch_execnz .LBB23_228
; %bb.191:                              ;   in Loop: Header=BB23_79 Depth=1
	s_or_b64 exec, exec, s[6:7]
	v_cmp_gt_i32_e32 vcc, s78, v44
	s_and_saveexec_b64 s[6:7], vcc
	s_cbranch_execnz .LBB23_229
.LBB23_192:                             ;   in Loop: Header=BB23_79 Depth=1
	s_or_b64 exec, exec, s[6:7]
	v_cmp_gt_i32_e32 vcc, s78, v43
	s_and_saveexec_b64 s[6:7], vcc
	s_cbranch_execnz .LBB23_230
.LBB23_193:                             ;   in Loop: Header=BB23_79 Depth=1
	s_or_b64 exec, exec, s[6:7]
	v_cmp_gt_i32_e32 vcc, s78, v42
	s_and_saveexec_b64 s[6:7], vcc
	s_cbranch_execz .LBB23_195
.LBB23_194:                             ;   in Loop: Header=BB23_79 Depth=1
	ds_read_u16 v20, v75
	s_waitcnt lgkmcnt(0)
	v_perm_b32 v19, v20, v19, s70
.LBB23_195:                             ;   in Loop: Header=BB23_79 Depth=1
	s_or_b64 exec, exec, s[6:7]
.LBB23_196:                             ;   in Loop: Header=BB23_79 Depth=1
	s_or_b64 exec, exec, s[4:5]
	s_mov_b32 s45, s44
	v_cmp_gt_i32_e32 vcc, s77, v39
	v_pk_mov_b32 v[20:21], s[44:45], s[44:45] op_sel:[0,1]
	s_and_saveexec_b64 s[4:5], vcc
	s_cbranch_execnz .LBB23_215
; %bb.197:                              ;   in Loop: Header=BB23_79 Depth=1
	s_or_b64 exec, exec, s[4:5]
	v_cmp_gt_i32_e64 s[4:5], s78, v44
	s_and_saveexec_b64 s[6:7], s[4:5]
	s_cbranch_execnz .LBB23_216
.LBB23_198:                             ;   in Loop: Header=BB23_79 Depth=1
	s_or_b64 exec, exec, s[6:7]
	v_cmp_gt_i32_e64 s[6:7], s78, v43
	s_and_saveexec_b64 s[26:27], s[6:7]
	s_cbranch_execnz .LBB23_217
.LBB23_199:                             ;   in Loop: Header=BB23_79 Depth=1
	s_or_b64 exec, exec, s[26:27]
	v_cmp_gt_i32_e64 s[26:27], s78, v42
	s_and_saveexec_b64 s[34:35], s[26:27]
	s_cbranch_execz .LBB23_201
.LBB23_200:                             ;   in Loop: Header=BB23_79 Depth=1
	ds_read_u16 v30, v49
	s_waitcnt lgkmcnt(0)
	v_perm_b32 v21, v30, v21, s70
.LBB23_201:                             ;   in Loop: Header=BB23_79 Depth=1
	s_or_b64 exec, exec, s[34:35]
	s_mov_b32 s45, s44
	v_pk_mov_b32 v[32:33], s[44:45], s[44:45] op_sel:[0,1]
	s_and_saveexec_b64 s[34:35], vcc
	s_cbranch_execnz .LBB23_218
; %bb.202:                              ;   in Loop: Header=BB23_79 Depth=1
	s_or_b64 exec, exec, s[34:35]
	s_and_saveexec_b64 s[34:35], s[4:5]
	s_cbranch_execnz .LBB23_219
.LBB23_203:                             ;   in Loop: Header=BB23_79 Depth=1
	s_or_b64 exec, exec, s[34:35]
	s_and_saveexec_b64 s[34:35], s[6:7]
	s_cbranch_execnz .LBB23_220
.LBB23_204:                             ;   in Loop: Header=BB23_79 Depth=1
	s_or_b64 exec, exec, s[34:35]
	s_and_saveexec_b64 s[34:35], s[26:27]
	s_cbranch_execz .LBB23_206
.LBB23_205:                             ;   in Loop: Header=BB23_79 Depth=1
	ds_read_u16 v30, v49 offset:512
	s_waitcnt lgkmcnt(0)
	v_perm_b32 v33, v30, v33, s70
.LBB23_206:                             ;   in Loop: Header=BB23_79 Depth=1
	s_or_b64 exec, exec, s[34:35]
	s_mov_b32 s45, s44
	v_pk_mov_b32 v[34:35], s[44:45], s[44:45] op_sel:[0,1]
	s_and_saveexec_b64 s[34:35], vcc
	s_cbranch_execnz .LBB23_221
; %bb.207:                              ;   in Loop: Header=BB23_79 Depth=1
	s_or_b64 exec, exec, s[34:35]
	s_and_saveexec_b64 s[34:35], s[4:5]
	s_cbranch_execnz .LBB23_222
.LBB23_208:                             ;   in Loop: Header=BB23_79 Depth=1
	s_or_b64 exec, exec, s[34:35]
	s_and_saveexec_b64 s[34:35], s[6:7]
	s_cbranch_execnz .LBB23_223
.LBB23_209:                             ;   in Loop: Header=BB23_79 Depth=1
	s_or_b64 exec, exec, s[34:35]
	s_and_saveexec_b64 s[34:35], s[26:27]
	s_cbranch_execz .LBB23_211
.LBB23_210:                             ;   in Loop: Header=BB23_79 Depth=1
	ds_read_u16 v30, v49 offset:1024
	s_waitcnt lgkmcnt(0)
	v_perm_b32 v35, v30, v35, s70
.LBB23_211:                             ;   in Loop: Header=BB23_79 Depth=1
	s_or_b64 exec, exec, s[34:35]
	s_mov_b32 s45, s44
	v_pk_mov_b32 v[36:37], s[44:45], s[44:45] op_sel:[0,1]
	s_and_saveexec_b64 s[34:35], vcc
	s_cbranch_execnz .LBB23_224
; %bb.212:                              ;   in Loop: Header=BB23_79 Depth=1
	s_or_b64 exec, exec, s[34:35]
	s_and_saveexec_b64 s[34:35], s[4:5]
	s_cbranch_execnz .LBB23_225
.LBB23_213:                             ;   in Loop: Header=BB23_79 Depth=1
	s_or_b64 exec, exec, s[34:35]
	s_and_saveexec_b64 s[4:5], s[6:7]
	s_cbranch_execnz .LBB23_226
.LBB23_214:                             ;   in Loop: Header=BB23_79 Depth=1
	s_or_b64 exec, exec, s[4:5]
	s_and_saveexec_b64 s[4:5], s[26:27]
	s_cbranch_execz .LBB23_78
	s_branch .LBB23_227
.LBB23_215:                             ;   in Loop: Header=BB23_79 Depth=1
	ds_read_u16 v20, v48
	s_waitcnt lgkmcnt(0)
	v_and_b32_e32 v30, 0xffff, v20
	v_pk_mov_b32 v[20:21], v[30:31], v[30:31] op_sel:[0,1]
	s_or_b64 exec, exec, s[4:5]
	v_cmp_gt_i32_e64 s[4:5], s78, v44
	s_and_saveexec_b64 s[6:7], s[4:5]
	s_cbranch_execz .LBB23_198
.LBB23_216:                             ;   in Loop: Header=BB23_79 Depth=1
	ds_read_u16 v30, v48 offset:2
	s_waitcnt lgkmcnt(0)
	v_perm_b32 v20, v30, v20, s70
	s_or_b64 exec, exec, s[6:7]
	v_cmp_gt_i32_e64 s[6:7], s78, v43
	s_and_saveexec_b64 s[26:27], s[6:7]
	s_cbranch_execz .LBB23_199
.LBB23_217:                             ;   in Loop: Header=BB23_79 Depth=1
	ds_read_u16 v30, v48 offset:4
	s_waitcnt lgkmcnt(0)
	v_bfi_b32 v21, s74, v30, v21
	s_or_b64 exec, exec, s[26:27]
	v_cmp_gt_i32_e64 s[26:27], s78, v42
	s_and_saveexec_b64 s[34:35], s[26:27]
	s_cbranch_execnz .LBB23_200
	s_branch .LBB23_201
.LBB23_218:                             ;   in Loop: Header=BB23_79 Depth=1
	ds_read_u16 v30, v48 offset:512
	s_waitcnt lgkmcnt(0)
	v_and_b32_e32 v30, 0xffff, v30
	v_pk_mov_b32 v[32:33], v[30:31], v[30:31] op_sel:[0,1]
	s_or_b64 exec, exec, s[34:35]
	s_and_saveexec_b64 s[34:35], s[4:5]
	s_cbranch_execz .LBB23_203
.LBB23_219:                             ;   in Loop: Header=BB23_79 Depth=1
	ds_read_u16 v30, v48 offset:514
	s_waitcnt lgkmcnt(0)
	v_perm_b32 v32, v30, v32, s70
	s_or_b64 exec, exec, s[34:35]
	s_and_saveexec_b64 s[34:35], s[6:7]
	s_cbranch_execz .LBB23_204
.LBB23_220:                             ;   in Loop: Header=BB23_79 Depth=1
	ds_read_u16 v30, v48 offset:516
	s_waitcnt lgkmcnt(0)
	v_bfi_b32 v33, s74, v30, v33
	s_or_b64 exec, exec, s[34:35]
	s_and_saveexec_b64 s[34:35], s[26:27]
	s_cbranch_execnz .LBB23_205
	s_branch .LBB23_206
.LBB23_221:                             ;   in Loop: Header=BB23_79 Depth=1
	ds_read_u16 v30, v48 offset:1024
	s_waitcnt lgkmcnt(0)
	v_and_b32_e32 v30, 0xffff, v30
	v_pk_mov_b32 v[34:35], v[30:31], v[30:31] op_sel:[0,1]
	s_or_b64 exec, exec, s[34:35]
	s_and_saveexec_b64 s[34:35], s[4:5]
	s_cbranch_execz .LBB23_208
.LBB23_222:                             ;   in Loop: Header=BB23_79 Depth=1
	ds_read_u16 v30, v48 offset:1026
	s_waitcnt lgkmcnt(0)
	v_perm_b32 v34, v30, v34, s70
	s_or_b64 exec, exec, s[34:35]
	s_and_saveexec_b64 s[34:35], s[6:7]
	s_cbranch_execz .LBB23_209
.LBB23_223:                             ;   in Loop: Header=BB23_79 Depth=1
	ds_read_u16 v30, v48 offset:1028
	s_waitcnt lgkmcnt(0)
	v_bfi_b32 v35, s74, v30, v35
	s_or_b64 exec, exec, s[34:35]
	s_and_saveexec_b64 s[34:35], s[26:27]
	s_cbranch_execnz .LBB23_210
	s_branch .LBB23_211
.LBB23_224:                             ;   in Loop: Header=BB23_79 Depth=1
	ds_read_u16 v30, v50
	s_waitcnt lgkmcnt(0)
	v_and_b32_e32 v30, 0xffff, v30
	v_pk_mov_b32 v[36:37], v[30:31], v[30:31] op_sel:[0,1]
	s_or_b64 exec, exec, s[34:35]
	s_and_saveexec_b64 s[34:35], s[4:5]
	s_cbranch_execz .LBB23_213
.LBB23_225:                             ;   in Loop: Header=BB23_79 Depth=1
	ds_read_u16 v30, v50 offset:2
	s_waitcnt lgkmcnt(0)
	v_perm_b32 v36, v30, v36, s70
	s_or_b64 exec, exec, s[34:35]
	s_and_saveexec_b64 s[4:5], s[6:7]
	s_cbranch_execz .LBB23_214
.LBB23_226:                             ;   in Loop: Header=BB23_79 Depth=1
	ds_read_u16 v30, v50 offset:4
	s_waitcnt lgkmcnt(0)
	v_bfi_b32 v37, s74, v30, v37
	s_or_b64 exec, exec, s[4:5]
	s_and_saveexec_b64 s[4:5], s[26:27]
	s_cbranch_execz .LBB23_78
.LBB23_227:                             ;   in Loop: Header=BB23_79 Depth=1
	ds_read_u16 v30, v51
	s_waitcnt lgkmcnt(0)
	v_perm_b32 v37, v30, v37, s70
	s_branch .LBB23_78
.LBB23_228:                             ;   in Loop: Header=BB23_79 Depth=1
	ds_read_u16 v18, v74
	s_waitcnt lgkmcnt(0)
	v_and_b32_e32 v30, 0xffff, v18
	v_pk_mov_b32 v[18:19], v[30:31], v[30:31] op_sel:[0,1]
	s_or_b64 exec, exec, s[6:7]
	v_cmp_gt_i32_e32 vcc, s78, v44
	s_and_saveexec_b64 s[6:7], vcc
	s_cbranch_execz .LBB23_192
.LBB23_229:                             ;   in Loop: Header=BB23_79 Depth=1
	ds_read_u16 v20, v74 offset:2
	s_waitcnt lgkmcnt(0)
	v_perm_b32 v18, v20, v18, s70
	s_or_b64 exec, exec, s[6:7]
	v_cmp_gt_i32_e32 vcc, s78, v43
	s_and_saveexec_b64 s[6:7], vcc
	s_cbranch_execz .LBB23_193
.LBB23_230:                             ;   in Loop: Header=BB23_79 Depth=1
	ds_read_u16 v20, v74 offset:4
	s_waitcnt lgkmcnt(0)
	v_bfi_b32 v19, s74, v20, v19
	s_or_b64 exec, exec, s[6:7]
	v_cmp_gt_i32_e32 vcc, s78, v42
	s_and_saveexec_b64 s[6:7], vcc
	s_cbranch_execnz .LBB23_194
	s_branch .LBB23_195
.LBB23_231:                             ;   in Loop: Header=BB23_79 Depth=1
                                        ; implicit-def: $vgpr19
.LBB23_232:                             ;   in Loop: Header=BB23_79 Depth=1
	v_and_b32_e32 v19, s66, v18
.LBB23_233:                             ;   in Loop: Header=BB23_79 Depth=1
	v_mov_b32_e32 v18, v19
.LBB23_234:                             ;   in Loop: Header=BB23_79 Depth=1
	s_and_b64 s[34:35], s[0:1], exec
	s_andn2_saveexec_b64 s[4:5], s[4:5]
	s_cbranch_execz .LBB23_81
.LBB23_235:                             ;   in Loop: Header=BB23_79 Depth=1
	s_andn2_b64 s[34:35], s[34:35], exec
	s_and_b64 s[36:37], s[0:1], exec
	v_mov_b32_e32 v18, 0
	s_or_b64 s[34:35], s[34:35], s[36:37]
	s_or_b64 exec, exec, s[4:5]
	s_and_saveexec_b64 s[4:5], s[34:35]
	s_cbranch_execnz .LBB23_82
	s_branch .LBB23_83
.LBB23_236:
	s_cmp_lg_u64 s[40:41], 0
	s_cbranch_scc0 .LBB23_278
; %bb.237:
	v_cmp_eq_u32_e32 vcc, 0, v38
	s_and_saveexec_b64 s[0:1], vcc
	s_cbranch_execz .LBB23_275
; %bb.238:
	v_cmp_le_u32_e32 vcc, s39, v39
	s_and_saveexec_b64 s[2:3], vcc
	s_xor_b64 s[2:3], exec, s[2:3]
	s_cbranch_execz .LBB23_240
; %bb.239:
	v_mov_b32_e32 v1, 1.0
	ds_write_b32 v41, v1 offset:4928
.LBB23_240:
	s_andn2_saveexec_b64 s[2:3], s[2:3]
	s_cbranch_execz .LBB23_246
; %bb.241:
	v_add_u32_e32 v18, s33, v39
	v_ashrrev_i32_e32 v19, 31, v18
	v_lshlrev_b64 v[18:19], 1, v[18:19]
	v_mov_b32_e32 v1, s41
	v_add_co_u32_e32 v18, vcc, s40, v18
	v_addc_co_u32_e32 v19, vcc, v1, v19, vcc
	global_load_ushort v1, v[18:19], off
	s_movk_i32 s4, 0x1f8
	s_waitcnt vmcnt(0)
	v_lshlrev_b32_e32 v1, 16, v1
	v_cmp_class_f32_e64 s[4:5], v1, s4
	s_and_saveexec_b64 s[6:7], s[4:5]
	s_xor_b64 s[4:5], exec, s[6:7]
	s_cbranch_execz .LBB23_243
; %bb.242:
	v_add_u32_e32 v20, 0x1000, v41
	ds_read2_b32 v[18:19], v20 offset0:144 offset1:160
	v_max_f32_e32 v21, v1, v1
	s_mov_b32 s6, 0xff800000
	s_waitcnt lgkmcnt(0)
	v_max_f32_e32 v22, v19, v19
	v_max_f32_e32 v21, v22, v21
	v_sub_f32_e32 v22, v19, v21
	v_sub_f32_e32 v1, v1, v21
	v_mul_f32_e32 v22, 0x3fb8aa3b, v22
	v_exp_f32_e32 v22, v22
	v_mul_f32_e32 v1, 0x3fb8aa3b, v1
	v_exp_f32_e32 v1, v1
	v_cmp_neq_f32_e32 vcc, s6, v19
	v_cndmask_b32_e32 v19, 0, v22, vcc
	v_mul_f32_e32 v22, v18, v19
	v_fmac_f32_e32 v1, v18, v19
	v_div_scale_f32 v18, s[6:7], v1, v1, v22
	v_rcp_f32_e32 v19, v18
	v_div_scale_f32 v23, vcc, v22, v1, v22
	v_fma_f32 v24, -v18, v19, 1.0
	v_fmac_f32_e32 v19, v24, v19
	v_mul_f32_e32 v24, v23, v19
	v_fma_f32 v25, -v18, v24, v23
	v_fmac_f32_e32 v24, v25, v19
	v_fma_f32 v18, -v18, v24, v23
	v_div_fmas_f32 v18, v18, v19, v24
	v_div_fixup_f32 v18, v18, v1, v22
	v_cmp_lt_f32_e32 vcc, 0, v1
	v_cndmask_b32_e32 v18, 1.0, v18, vcc
	ds_write_b32 v41, v18 offset:4928
	ds_write2_b32 v20, v1, v21 offset0:144 offset1:160
.LBB23_243:
	s_andn2_saveexec_b64 s[4:5], s[4:5]
	s_cbranch_execz .LBB23_245
; %bb.244:
	v_mov_b32_e32 v1, 1.0
	ds_write_b32 v41, v1 offset:4928
.LBB23_245:
	s_or_b64 exec, exec, s[4:5]
.LBB23_246:
	s_or_b64 exec, exec, s[2:3]
	v_or_b32_e32 v1, 1, v40
	v_cmp_le_u32_e32 vcc, s62, v1
	s_and_saveexec_b64 s[2:3], vcc
	s_xor_b64 s[2:3], exec, s[2:3]
	s_cbranch_execz .LBB23_250
; %bb.247:
	v_cmp_gt_u32_e32 vcc, 64, v0
	s_and_saveexec_b64 s[4:5], vcc
	s_cbranch_execz .LBB23_249
; %bb.248:
	v_lshlrev_b32_e32 v1, 2, v40
	v_mov_b32_e32 v18, 1.0
	ds_write_b32 v1, v18 offset:4932
.LBB23_249:
	s_or_b64 exec, exec, s[4:5]
.LBB23_250:
	s_andn2_saveexec_b64 s[2:3], s[2:3]
	s_cbranch_execz .LBB23_256
; %bb.251:
	s_ashr_i32 s4, s33, 31
	v_mov_b32_e32 v1, s4
	v_add_co_u32_e32 v18, vcc, s33, v40
	v_addc_co_u32_e32 v19, vcc, 0, v1, vcc
	v_lshlrev_b64 v[18:19], 1, v[18:19]
	v_mov_b32_e32 v1, s41
	v_add_co_u32_e32 v18, vcc, s40, v18
	v_addc_co_u32_e32 v19, vcc, v1, v19, vcc
	global_load_ushort v1, v[18:19], off offset:2
	s_movk_i32 s4, 0x1f8
	s_waitcnt vmcnt(0)
	v_lshlrev_b32_e32 v1, 16, v1
	v_cmp_class_f32_e64 s[4:5], v1, s4
	s_and_saveexec_b64 s[6:7], s[4:5]
	s_xor_b64 s[4:5], exec, s[6:7]
	s_cbranch_execz .LBB23_253
; %bb.252:
	v_lshlrev_b32_e32 v20, 2, v40
	v_add_u32_e32 v21, 0x1000, v20
	ds_read2_b32 v[18:19], v21 offset0:145 offset1:161
	v_max_f32_e32 v22, v1, v1
	s_mov_b32 s6, 0xff800000
	s_waitcnt lgkmcnt(0)
	v_max_f32_e32 v23, v19, v19
	v_max_f32_e32 v22, v23, v22
	v_sub_f32_e32 v23, v19, v22
	v_sub_f32_e32 v1, v1, v22
	v_mul_f32_e32 v23, 0x3fb8aa3b, v23
	v_exp_f32_e32 v23, v23
	v_mul_f32_e32 v1, 0x3fb8aa3b, v1
	v_exp_f32_e32 v1, v1
	v_cmp_neq_f32_e32 vcc, s6, v19
	v_cndmask_b32_e32 v19, 0, v23, vcc
	v_mul_f32_e32 v23, v18, v19
	v_fmac_f32_e32 v1, v18, v19
	v_div_scale_f32 v18, s[6:7], v1, v1, v23
	v_rcp_f32_e32 v19, v18
	v_div_scale_f32 v24, vcc, v23, v1, v23
	v_fma_f32 v25, -v18, v19, 1.0
	v_fmac_f32_e32 v19, v25, v19
	v_mul_f32_e32 v25, v24, v19
	v_fma_f32 v26, -v18, v25, v24
	v_fmac_f32_e32 v25, v26, v19
	v_fma_f32 v18, -v18, v25, v24
	v_div_fmas_f32 v18, v18, v19, v25
	v_div_fixup_f32 v18, v18, v1, v23
	v_cmp_lt_f32_e32 vcc, 0, v1
	v_cndmask_b32_e32 v18, 1.0, v18, vcc
	ds_write_b32 v20, v18 offset:4932
	ds_write2_b32 v21, v1, v22 offset0:145 offset1:161
.LBB23_253:
	s_andn2_saveexec_b64 s[4:5], s[4:5]
	s_cbranch_execz .LBB23_255
; %bb.254:
	v_lshlrev_b32_e32 v1, 2, v40
	v_mov_b32_e32 v18, 1.0
	ds_write_b32 v1, v18 offset:4932
.LBB23_255:
	s_or_b64 exec, exec, s[4:5]
.LBB23_256:
	s_or_b64 exec, exec, s[2:3]
	v_or_b32_e32 v1, 2, v40
	v_cmp_le_u32_e32 vcc, s62, v1
	s_and_saveexec_b64 s[2:3], vcc
	s_xor_b64 s[2:3], exec, s[2:3]
	s_cbranch_execz .LBB23_260
; %bb.257:
	v_cmp_gt_u32_e32 vcc, 64, v0
	s_and_saveexec_b64 s[4:5], vcc
	s_cbranch_execz .LBB23_259
; %bb.258:
	v_lshlrev_b32_e32 v1, 2, v40
	v_mov_b32_e32 v18, 1.0
	ds_write_b32 v1, v18 offset:4936
.LBB23_259:
	s_or_b64 exec, exec, s[4:5]
.LBB23_260:
	s_andn2_saveexec_b64 s[2:3], s[2:3]
	s_cbranch_execz .LBB23_266
; %bb.261:
	s_ashr_i32 s4, s33, 31
	v_mov_b32_e32 v1, s4
	v_add_co_u32_e32 v18, vcc, s33, v40
	v_addc_co_u32_e32 v19, vcc, 0, v1, vcc
	v_lshlrev_b64 v[18:19], 1, v[18:19]
	v_mov_b32_e32 v1, s41
	v_add_co_u32_e32 v18, vcc, s40, v18
	v_addc_co_u32_e32 v19, vcc, v1, v19, vcc
	global_load_ushort v1, v[18:19], off offset:4
	s_movk_i32 s4, 0x1f8
	s_waitcnt vmcnt(0)
	v_lshlrev_b32_e32 v1, 16, v1
	v_cmp_class_f32_e64 s[4:5], v1, s4
	s_and_saveexec_b64 s[6:7], s[4:5]
	s_xor_b64 s[4:5], exec, s[6:7]
	s_cbranch_execz .LBB23_263
; %bb.262:
	v_lshlrev_b32_e32 v20, 2, v40
	v_add_u32_e32 v21, 0x1000, v20
	ds_read2_b32 v[18:19], v21 offset0:146 offset1:162
	v_max_f32_e32 v22, v1, v1
	s_mov_b32 s6, 0xff800000
	s_waitcnt lgkmcnt(0)
	v_max_f32_e32 v23, v19, v19
	v_max_f32_e32 v22, v23, v22
	v_sub_f32_e32 v23, v19, v22
	v_sub_f32_e32 v1, v1, v22
	v_mul_f32_e32 v23, 0x3fb8aa3b, v23
	v_exp_f32_e32 v23, v23
	v_mul_f32_e32 v1, 0x3fb8aa3b, v1
	v_exp_f32_e32 v1, v1
	v_cmp_neq_f32_e32 vcc, s6, v19
	v_cndmask_b32_e32 v19, 0, v23, vcc
	v_mul_f32_e32 v23, v18, v19
	v_fmac_f32_e32 v1, v18, v19
	v_div_scale_f32 v18, s[6:7], v1, v1, v23
	v_rcp_f32_e32 v19, v18
	v_div_scale_f32 v24, vcc, v23, v1, v23
	v_fma_f32 v25, -v18, v19, 1.0
	v_fmac_f32_e32 v19, v25, v19
	v_mul_f32_e32 v25, v24, v19
	v_fma_f32 v26, -v18, v25, v24
	v_fmac_f32_e32 v25, v26, v19
	v_fma_f32 v18, -v18, v25, v24
	v_div_fmas_f32 v18, v18, v19, v25
	v_div_fixup_f32 v18, v18, v1, v23
	v_cmp_lt_f32_e32 vcc, 0, v1
	v_cndmask_b32_e32 v18, 1.0, v18, vcc
	ds_write_b32 v20, v18 offset:4936
	ds_write2_b32 v21, v1, v22 offset0:146 offset1:162
.LBB23_263:
	s_andn2_saveexec_b64 s[4:5], s[4:5]
	s_cbranch_execz .LBB23_265
; %bb.264:
	v_lshlrev_b32_e32 v1, 2, v40
	v_mov_b32_e32 v18, 1.0
	ds_write_b32 v1, v18 offset:4936
.LBB23_265:
	s_or_b64 exec, exec, s[4:5]
.LBB23_266:
	s_or_b64 exec, exec, s[2:3]
	v_cmp_le_u32_e32 vcc, s62, v42
	s_and_saveexec_b64 s[2:3], vcc
	s_xor_b64 s[2:3], exec, s[2:3]
	s_cbranch_execz .LBB23_270
; %bb.267:
	v_cmp_gt_u32_e32 vcc, 64, v0
	s_and_saveexec_b64 s[4:5], vcc
	s_cbranch_execz .LBB23_269
; %bb.268:
	v_lshlrev_b32_e32 v1, 2, v40
	v_mov_b32_e32 v18, 1.0
	ds_write_b32 v1, v18 offset:4940
.LBB23_269:
	s_or_b64 exec, exec, s[4:5]
.LBB23_270:
	s_andn2_saveexec_b64 s[2:3], s[2:3]
	s_cbranch_execz .LBB23_275
; %bb.271:
	s_ashr_i32 s2, s33, 31
	v_mov_b32_e32 v1, s2
	v_add_co_u32_e32 v18, vcc, s33, v40
	v_addc_co_u32_e32 v19, vcc, 0, v1, vcc
	v_lshlrev_b64 v[18:19], 1, v[18:19]
	v_mov_b32_e32 v1, s41
	v_add_co_u32_e32 v18, vcc, s40, v18
	v_addc_co_u32_e32 v19, vcc, v1, v19, vcc
	global_load_ushort v1, v[18:19], off offset:6
	s_movk_i32 s2, 0x1f8
	s_waitcnt vmcnt(0)
	v_lshlrev_b32_e32 v18, 16, v1
	v_cmp_class_f32_e64 s[2:3], v18, s2
	v_lshlrev_b32_e32 v1, 2, v40
	s_and_saveexec_b64 s[4:5], s[2:3]
	s_xor_b64 s[2:3], exec, s[4:5]
	s_cbranch_execz .LBB23_273
; %bb.272:
	v_add_u32_e32 v19, 0x1000, v1
	ds_read2_b32 v[20:21], v19 offset0:147 offset1:163
	v_max_f32_e32 v22, v18, v18
	s_mov_b32 s4, 0xff800000
	s_waitcnt lgkmcnt(0)
	v_max_f32_e32 v23, v21, v21
	v_max_f32_e32 v22, v23, v22
	v_sub_f32_e32 v23, v21, v22
	v_sub_f32_e32 v18, v18, v22
	v_mul_f32_e32 v23, 0x3fb8aa3b, v23
	v_exp_f32_e32 v23, v23
	v_mul_f32_e32 v18, 0x3fb8aa3b, v18
	v_exp_f32_e32 v18, v18
	v_cmp_neq_f32_e32 vcc, s4, v21
	v_cndmask_b32_e32 v21, 0, v23, vcc
	v_mul_f32_e32 v23, v20, v21
	v_fmac_f32_e32 v18, v20, v21
	v_div_scale_f32 v20, s[4:5], v18, v18, v23
	v_rcp_f32_e32 v21, v20
	v_div_scale_f32 v24, vcc, v23, v18, v23
	v_fma_f32 v25, -v20, v21, 1.0
	v_fmac_f32_e32 v21, v25, v21
	v_mul_f32_e32 v25, v24, v21
	v_fma_f32 v26, -v20, v25, v24
	v_fmac_f32_e32 v25, v26, v21
	v_fma_f32 v20, -v20, v25, v24
	v_div_fmas_f32 v20, v20, v21, v25
	v_div_fixup_f32 v20, v20, v18, v23
	v_cmp_lt_f32_e32 vcc, 0, v18
	v_cndmask_b32_e32 v20, 1.0, v20, vcc
	ds_write_b32 v1, v20 offset:4940
	ds_write2_b32 v19, v18, v22 offset0:147 offset1:163
                                        ; implicit-def: $vgpr1
.LBB23_273:
	s_andn2_saveexec_b64 s[2:3], s[2:3]
	s_cbranch_execz .LBB23_275
; %bb.274:
	v_mov_b32_e32 v18, 1.0
	ds_write_b32 v1, v18 offset:4940
.LBB23_275:
	s_or_b64 exec, exec, s[0:1]
	s_waitcnt lgkmcnt(0)
	s_barrier
	ds_read_b96 v[18:20], v41 offset:4928
	v_cmp_gt_u32_e32 vcc, 64, v0
	v_mov_b32_e32 v1, 1.0
	s_and_saveexec_b64 s[0:1], vcc
	s_cbranch_execz .LBB23_277
; %bb.276:
	v_lshl_or_b32 v1, v40, 2, 12
	ds_read_b32 v1, v1 offset:4928
.LBB23_277:
	s_or_b64 exec, exec, s[0:1]
	s_waitcnt lgkmcnt(0)
	v_pk_mul_f32 v[14:15], v[14:15], v[18:19]
	v_pk_mul_f32 v[10:11], v[10:11], v[18:19]
	v_pk_mul_f32 v[2:3], v[2:3], v[18:19]
	v_pk_mul_f32 v[6:7], v[6:7], v[18:19]
	v_mul_f32_e32 v12, v12, v20
	v_mul_f32_e32 v4, v4, v20
	;; [unrolled: 1-line block ×8, first 2 shown]
.LBB23_278:
	s_lshl_b64 s[0:1], s[48:49], 2
	s_add_u32 s2, s42, s0
	v_or_b32_e32 v0, 48, v0
	s_addc_u32 s3, s43, s1
	v_cmp_gt_u32_e32 vcc, s39, v39
	v_lshlrev_b32_e32 v1, 2, v38
	v_lshlrev_b32_e32 v0, 2, v0
	s_and_saveexec_b64 s[0:1], vcc
	s_cbranch_execnz .LBB23_284
; %bb.279:
	s_or_b64 exec, exec, s[0:1]
	v_cmp_gt_u32_e32 vcc, s62, v44
	s_and_saveexec_b64 s[0:1], vcc
	s_cbranch_execnz .LBB23_285
.LBB23_280:
	s_or_b64 exec, exec, s[0:1]
	v_cmp_gt_u32_e32 vcc, s62, v43
	s_and_saveexec_b64 s[0:1], vcc
	s_cbranch_execnz .LBB23_286
.LBB23_281:
	s_or_b64 exec, exec, s[0:1]
	v_cmp_gt_u32_e32 vcc, s62, v42
	s_and_b64 exec, exec, vcc
	s_cbranch_execz .LBB23_283
.LBB23_282:
	v_add_u32_e32 v2, s33, v42
	v_ashrrev_i32_e32 v3, 31, v2
	v_lshlrev_b64 v[2:3], 8, v[2:3]
	v_mov_b32_e32 v4, s3
	v_add_co_u32_e32 v6, vcc, s2, v2
	v_addc_co_u32_e32 v4, vcc, v4, v3, vcc
	v_add_co_u32_e32 v2, vcc, v6, v1
	v_addc_co_u32_e32 v3, vcc, 0, v4, vcc
	;; [unrolled: 2-line block ×3, first 2 shown]
	global_store_dword v[2:3], v13, off
	global_store_dword v[2:3], v5, off offset:64
	global_store_dword v[2:3], v9, off offset:128
	global_store_dword v[0:1], v17, off
.LBB23_283:
	s_endpgm
.LBB23_284:
	v_add_u32_e32 v18, s33, v39
	v_ashrrev_i32_e32 v19, 31, v18
	v_lshlrev_b64 v[18:19], 8, v[18:19]
	v_mov_b32_e32 v20, s3
	v_add_co_u32_e32 v21, vcc, s2, v18
	v_addc_co_u32_e32 v20, vcc, v20, v19, vcc
	v_add_co_u32_e32 v18, vcc, v21, v1
	v_addc_co_u32_e32 v19, vcc, 0, v20, vcc
	global_store_dword v[18:19], v10, off
	global_store_dword v[18:19], v2, off offset:64
	global_store_dword v[18:19], v6, off offset:128
	v_add_co_u32_e32 v18, vcc, v21, v0
	v_addc_co_u32_e32 v19, vcc, 0, v20, vcc
	global_store_dword v[18:19], v14, off
	s_or_b64 exec, exec, s[0:1]
	v_cmp_gt_u32_e32 vcc, s62, v44
	s_and_saveexec_b64 s[0:1], vcc
	s_cbranch_execz .LBB23_280
.LBB23_285:
	v_add_u32_e32 v18, s33, v44
	v_ashrrev_i32_e32 v19, 31, v18
	v_lshlrev_b64 v[18:19], 8, v[18:19]
	v_mov_b32_e32 v2, s3
	v_add_co_u32_e32 v6, vcc, s2, v18
	v_addc_co_u32_e32 v10, vcc, v2, v19, vcc
	v_add_co_u32_e32 v18, vcc, v6, v1
	v_addc_co_u32_e32 v19, vcc, 0, v10, vcc
	v_add_co_u32_e32 v2, vcc, v6, v0
	global_store_dword v[18:19], v11, off
	global_store_dword v[18:19], v3, off offset:64
	global_store_dword v[18:19], v7, off offset:128
	v_addc_co_u32_e32 v3, vcc, 0, v10, vcc
	global_store_dword v[2:3], v15, off
	s_or_b64 exec, exec, s[0:1]
	v_cmp_gt_u32_e32 vcc, s62, v43
	s_and_saveexec_b64 s[0:1], vcc
	s_cbranch_execz .LBB23_281
.LBB23_286:
	v_add_u32_e32 v2, s33, v43
	v_ashrrev_i32_e32 v3, 31, v2
	v_lshlrev_b64 v[2:3], 8, v[2:3]
	v_mov_b32_e32 v6, s3
	v_add_co_u32_e32 v7, vcc, s2, v2
	v_addc_co_u32_e32 v6, vcc, v6, v3, vcc
	v_add_co_u32_e32 v2, vcc, v7, v1
	v_addc_co_u32_e32 v3, vcc, 0, v6, vcc
	global_store_dword v[2:3], v12, off
	global_store_dword v[2:3], v4, off offset:64
	global_store_dword v[2:3], v8, off offset:128
	v_add_co_u32_e32 v2, vcc, v7, v0
	v_addc_co_u32_e32 v3, vcc, 0, v6, vcc
	global_store_dword v[2:3], v16, off
	s_or_b64 exec, exec, s[0:1]
	v_cmp_gt_u32_e32 vcc, s62, v42
	s_and_b64 exec, exec, vcc
	s_cbranch_execnz .LBB23_282
	s_branch .LBB23_283
	.section	.rodata,"a",@progbits
	.p2align	6, 0x0
	.amdhsa_kernel _Z22fa2_decode_mfma_head64I14__hip_bfloat16Lb0ELi16ELi16EEvPKfPKvS4_S2_PKS0_PfiiiiiiiiPKiS9_xPKxS9_S9_i
		.amdhsa_group_segment_fixed_size 4992
		.amdhsa_private_segment_fixed_size 0
		.amdhsa_kernarg_size 132
		.amdhsa_user_sgpr_count 6
		.amdhsa_user_sgpr_private_segment_buffer 1
		.amdhsa_user_sgpr_dispatch_ptr 0
		.amdhsa_user_sgpr_queue_ptr 0
		.amdhsa_user_sgpr_kernarg_segment_ptr 1
		.amdhsa_user_sgpr_dispatch_id 0
		.amdhsa_user_sgpr_flat_scratch_init 0
		.amdhsa_user_sgpr_kernarg_preload_length 0
		.amdhsa_user_sgpr_kernarg_preload_offset 0
		.amdhsa_user_sgpr_private_segment_size 0
		.amdhsa_uses_dynamic_stack 0
		.amdhsa_system_sgpr_private_segment_wavefront_offset 0
		.amdhsa_system_sgpr_workgroup_id_x 1
		.amdhsa_system_sgpr_workgroup_id_y 1
		.amdhsa_system_sgpr_workgroup_id_z 0
		.amdhsa_system_sgpr_workgroup_info 0
		.amdhsa_system_vgpr_workitem_id 0
		.amdhsa_next_free_vgpr 96
		.amdhsa_next_free_sgpr 82
		.amdhsa_accum_offset 96
		.amdhsa_reserve_vcc 1
		.amdhsa_reserve_flat_scratch 0
		.amdhsa_float_round_mode_32 0
		.amdhsa_float_round_mode_16_64 0
		.amdhsa_float_denorm_mode_32 3
		.amdhsa_float_denorm_mode_16_64 3
		.amdhsa_dx10_clamp 1
		.amdhsa_ieee_mode 1
		.amdhsa_fp16_overflow 0
		.amdhsa_tg_split 0
		.amdhsa_exception_fp_ieee_invalid_op 0
		.amdhsa_exception_fp_denorm_src 0
		.amdhsa_exception_fp_ieee_div_zero 0
		.amdhsa_exception_fp_ieee_overflow 0
		.amdhsa_exception_fp_ieee_underflow 0
		.amdhsa_exception_fp_ieee_inexact 0
		.amdhsa_exception_int_div_zero 0
	.end_amdhsa_kernel
	.section	.text._Z22fa2_decode_mfma_head64I14__hip_bfloat16Lb0ELi16ELi16EEvPKfPKvS4_S2_PKS0_PfiiiiiiiiPKiS9_xPKxS9_S9_i,"axG",@progbits,_Z22fa2_decode_mfma_head64I14__hip_bfloat16Lb0ELi16ELi16EEvPKfPKvS4_S2_PKS0_PfiiiiiiiiPKiS9_xPKxS9_S9_i,comdat
.Lfunc_end23:
	.size	_Z22fa2_decode_mfma_head64I14__hip_bfloat16Lb0ELi16ELi16EEvPKfPKvS4_S2_PKS0_PfiiiiiiiiPKiS9_xPKxS9_S9_i, .Lfunc_end23-_Z22fa2_decode_mfma_head64I14__hip_bfloat16Lb0ELi16ELi16EEvPKfPKvS4_S2_PKS0_PfiiiiiiiiPKiS9_xPKxS9_S9_i
                                        ; -- End function
	.section	.AMDGPU.csdata,"",@progbits
; Kernel info:
; codeLenInByte = 11220
; NumSgprs: 86
; NumVgprs: 96
; NumAgprs: 0
; TotalNumVgprs: 96
; ScratchSize: 0
; MemoryBound: 0
; FloatMode: 240
; IeeeMode: 1
; LDSByteSize: 4992 bytes/workgroup (compile time only)
; SGPRBlocks: 10
; VGPRBlocks: 11
; NumSGPRsForWavesPerEU: 86
; NumVGPRsForWavesPerEU: 96
; AccumOffset: 96
; Occupancy: 5
; WaveLimiterHint : 1
; COMPUTE_PGM_RSRC2:SCRATCH_EN: 0
; COMPUTE_PGM_RSRC2:USER_SGPR: 6
; COMPUTE_PGM_RSRC2:TRAP_HANDLER: 0
; COMPUTE_PGM_RSRC2:TGID_X_EN: 1
; COMPUTE_PGM_RSRC2:TGID_Y_EN: 1
; COMPUTE_PGM_RSRC2:TGID_Z_EN: 0
; COMPUTE_PGM_RSRC2:TIDIG_COMP_CNT: 0
; COMPUTE_PGM_RSRC3_GFX90A:ACCUM_OFFSET: 23
; COMPUTE_PGM_RSRC3_GFX90A:TG_SPLIT: 0
	.section	.text._Z22fa2_decode_mfma_head64IfLb1ELi16ELi16EEvPKfPKvS3_S1_PK14__hip_bfloat16PfiiiiiiiiPKiS9_xPKxS9_S9_i,"axG",@progbits,_Z22fa2_decode_mfma_head64IfLb1ELi16ELi16EEvPKfPKvS3_S1_PK14__hip_bfloat16PfiiiiiiiiPKiS9_xPKxS9_S9_i,comdat
	.protected	_Z22fa2_decode_mfma_head64IfLb1ELi16ELi16EEvPKfPKvS3_S1_PK14__hip_bfloat16PfiiiiiiiiPKiS9_xPKxS9_S9_i ; -- Begin function _Z22fa2_decode_mfma_head64IfLb1ELi16ELi16EEvPKfPKvS3_S1_PK14__hip_bfloat16PfiiiiiiiiPKiS9_xPKxS9_S9_i
	.globl	_Z22fa2_decode_mfma_head64IfLb1ELi16ELi16EEvPKfPKvS3_S1_PK14__hip_bfloat16PfiiiiiiiiPKiS9_xPKxS9_S9_i
	.p2align	8
	.type	_Z22fa2_decode_mfma_head64IfLb1ELi16ELi16EEvPKfPKvS3_S1_PK14__hip_bfloat16PfiiiiiiiiPKiS9_xPKxS9_S9_i,@function
_Z22fa2_decode_mfma_head64IfLb1ELi16ELi16EEvPKfPKvS3_S1_PK14__hip_bfloat16PfiiiiiiiiPKiS9_xPKxS9_S9_i: ; @_Z22fa2_decode_mfma_head64IfLb1ELi16ELi16EEvPKfPKvS3_S1_PK14__hip_bfloat16PfiiiiiiiiPKiS9_xPKxS9_S9_i
; %bb.0:
	s_load_dwordx2 s[8:9], s[4:5], 0x30
	s_load_dwordx2 s[48:49], s[4:5], 0x3c
	v_cmp_gt_u32_e32 vcc, 64, v0
	s_waitcnt lgkmcnt(0)
	s_cmp_lt_i32 s7, s8
	s_cselect_b64 s[0:1], -1, 0
	s_and_b64 s[0:1], vcc, s[0:1]
	s_cmp_gt_i32 s49, 0
	s_cselect_b64 s[10:11], -1, 0
	s_and_b64 s[0:1], s[0:1], s[10:11]
	s_and_saveexec_b64 s[10:11], s[0:1]
	s_cbranch_execz .LBB24_312
; %bb.1:
	s_load_dwordx2 s[14:15], s[4:5], 0x48
	s_mul_i32 s33, s6, s49
	s_waitcnt lgkmcnt(0)
	s_cmp_ge_i32 s33, s15
	s_cbranch_scc1 .LBB24_312
; %bb.2:
	s_mov_b32 s2, s7
	s_load_dwordx4 s[24:27], s[4:5], 0x50
	s_load_dwordx2 s[0:1], s[4:5], 0x78
	s_load_dwordx4 s[20:23], s[4:5], 0x68
	s_load_dwordx2 s[16:17], s[4:5], 0x0
	s_ashr_i32 s3, s7, 31
	s_lshl_b64 s[10:11], s[2:3], 2
	s_waitcnt lgkmcnt(0)
	s_add_u32 s12, s24, s10
	s_addc_u32 s13, s25, s11
	s_ashr_i32 s25, s14, 31
	s_mov_b32 s24, s14
	s_lshl_b64 s[28:29], s[24:25], 2
	s_add_u32 s18, s0, s28
	s_addc_u32 s19, s1, s29
	s_lshl_b64 s[0:1], s[24:25], 3
	s_add_u32 s20, s20, s0
	s_addc_u32 s21, s21, s1
	s_add_u32 s22, s22, s28
	s_addc_u32 s23, s23, s29
	s_add_u32 s24, s26, s10
	s_addc_u32 s25, s27, s11
	v_cmp_gt_u32_e64 s[0:1], 16, v0
	v_lshlrev_b32_e32 v1, 2, v0
	s_and_saveexec_b64 s[10:11], s[0:1]
	s_cbranch_execz .LBB24_4
; %bb.3:
	v_mov_b32_e32 v2, 0xff800000
	v_mov_b32_e32 v3, 0
	v_add_u32_e32 v4, 0x1000, v1
	ds_write2_b32 v4, v3, v2 offset0:144 offset1:160
.LBB24_4:
	s_or_b64 exec, exec, s[10:11]
	s_load_dwordx8 s[36:43], s[4:5], 0x8
	s_load_dwordx2 s[50:51], s[4:5], 0x28
	s_load_dwordx2 s[10:11], s[20:21], 0x0
	s_load_dword s58, s[12:13], 0x0
	s_load_dword s8, s[18:19], 0x0
	;; [unrolled: 1-line block ×4, first 2 shown]
	s_mul_hi_i32 s13, s2, s15
	s_mul_i32 s12, s2, s15
	v_and_b32_e32 v38, 15, v0
	s_lshl_b64 s[2:3], s[12:13], 8
	v_add_u32_e32 v2, s33, v38
	s_add_u32 s14, s16, s2
	v_rsq_f32_e32 v4, 0x42800000
	v_ashrrev_i32_e32 v3, 31, v2
	s_addc_u32 s15, s17, s3
	v_lshlrev_b64 v[2:3], 8, v[2:3]
	v_lshrrev_b32_e32 v40, 2, v0
	v_mov_b32_e32 v6, s15
	v_add_co_u32_e32 v5, vcc, s14, v2
	v_and_b32_e32 v39, 12, v40
	v_mov_b32_e32 v23, 0
	v_cmp_gt_u32_e64 s[2:3], s49, v38
	v_addc_co_u32_e32 v6, vcc, v6, v3, vcc
	v_lshlrev_b32_e32 v41, 2, v39
	v_mov_b32_e32 v22, v23
	s_waitcnt lgkmcnt(0)
	s_barrier
	s_and_saveexec_b64 s[14:15], s[2:3]
	s_cbranch_execz .LBB24_22
; %bb.5:
	v_add_co_u32_e32 v2, vcc, v5, v41
	v_addc_co_u32_e32 v3, vcc, 0, v6, vcc
	global_load_dword v7, v[2:3], off
	s_mov_b32 s16, 0x7f800000
	s_waitcnt vmcnt(0)
	v_mul_f32_e32 v8, v4, v7
	v_and_b32_e32 v7, 0x7f800000, v8
	v_cmp_ne_u32_e32 vcc, s16, v7
                                        ; implicit-def: $vgpr7
	s_and_saveexec_b64 s[16:17], vcc
	s_xor_b64 s[16:17], exec, s[16:17]
; %bb.6:
	v_bfe_u32 v7, v8, 16, 1
	s_movk_i32 s18, 0x7fff
	v_add3_u32 v7, v8, v7, s18
                                        ; implicit-def: $vgpr8
; %bb.7:
	s_andn2_saveexec_b64 s[16:17], s[16:17]
; %bb.8:
	v_mov_b32_e32 v7, 0
	v_or_b32_e32 v9, 0x10000, v8
	v_cmp_eq_u32_sdwa vcc, v8, v7 src0_sel:WORD_0 src1_sel:DWORD
	v_cndmask_b32_e32 v7, v9, v8, vcc
; %bb.9:
	s_or_b64 exec, exec, s[16:17]
	global_load_dword v8, v[2:3], off offset:4
	s_mov_b32 s16, 0x7f800000
	s_waitcnt vmcnt(0)
	v_mul_f32_e32 v9, v4, v8
	v_and_b32_e32 v8, 0x7f800000, v9
	v_cmp_ne_u32_e32 vcc, s16, v8
                                        ; implicit-def: $vgpr8
	s_and_saveexec_b64 s[16:17], vcc
	s_xor_b64 s[16:17], exec, s[16:17]
; %bb.10:
	v_bfe_u32 v8, v9, 16, 1
	s_movk_i32 s18, 0x7fff
	v_add3_u32 v8, v9, v8, s18
                                        ; implicit-def: $vgpr9
; %bb.11:
	s_andn2_saveexec_b64 s[16:17], s[16:17]
; %bb.12:
	v_mov_b32_e32 v8, 0
	v_or_b32_e32 v10, 0x10000, v9
	v_cmp_eq_u32_sdwa vcc, v9, v8 src0_sel:WORD_0 src1_sel:DWORD
	v_cndmask_b32_e32 v8, v10, v9, vcc
; %bb.13:
	s_or_b64 exec, exec, s[16:17]
	global_load_dword v2, v[2:3], off offset:8
	s_mov_b32 s16, 0x7f800000
	s_waitcnt vmcnt(0)
	v_mul_f32_e32 v3, v4, v2
	v_and_b32_e32 v2, 0x7f800000, v3
	v_cmp_ne_u32_e32 vcc, s16, v2
                                        ; implicit-def: $vgpr2
	s_and_saveexec_b64 s[16:17], vcc
	s_xor_b64 s[16:17], exec, s[16:17]
; %bb.14:
	v_bfe_u32 v2, v3, 16, 1
	s_movk_i32 s18, 0x7fff
	v_add3_u32 v2, v3, v2, s18
                                        ; implicit-def: $vgpr3
; %bb.15:
	s_andn2_saveexec_b64 s[16:17], s[16:17]
; %bb.16:
	v_mov_b32_e32 v2, 0
	v_or_b32_e32 v9, 0x10000, v3
	v_cmp_eq_u32_sdwa vcc, v3, v2 src0_sel:WORD_0 src1_sel:DWORD
	v_cndmask_b32_e32 v2, v9, v3, vcc
; %bb.17:
	s_or_b64 exec, exec, s[16:17]
	v_lshl_or_b32 v3, v40, 2, 12
	v_add_co_u32_e32 v10, vcc, v5, v3
	v_addc_co_u32_e32 v11, vcc, 0, v6, vcc
	global_load_dword v3, v[10:11], off
	s_mov_b32 s16, 0x7f800000
	s_waitcnt vmcnt(0)
	v_mul_f32_e32 v3, v4, v3
	v_and_b32_e32 v9, 0x7f800000, v3
	v_cmp_ne_u32_e32 vcc, s16, v9
                                        ; implicit-def: $vgpr9
	s_and_saveexec_b64 s[16:17], vcc
	s_xor_b64 s[16:17], exec, s[16:17]
; %bb.18:
	v_bfe_u32 v9, v3, 16, 1
	s_movk_i32 s18, 0x7fff
	v_add3_u32 v9, v3, v9, s18
                                        ; implicit-def: $vgpr3
; %bb.19:
	s_andn2_saveexec_b64 s[16:17], s[16:17]
; %bb.20:
	v_mov_b32_e32 v9, 0
	v_or_b32_e32 v10, 0x10000, v3
	v_cmp_eq_u32_sdwa vcc, v3, v9 src0_sel:WORD_0 src1_sel:DWORD
	v_cndmask_b32_e32 v9, v10, v3, vcc
; %bb.21:
	s_or_b64 exec, exec, s[16:17]
	s_mov_b32 s16, 0x7060302
	v_perm_b32 v22, v8, v7, s16
	v_perm_b32 v23, v9, v2, s16
.LBB24_22:
	s_or_b64 exec, exec, s[14:15]
	v_mov_b32_e32 v25, 0
	s_lshl_b64 s[52:53], s[12:13], 6
	v_mov_b32_e32 v24, v25
	s_and_saveexec_b64 s[12:13], s[2:3]
	s_cbranch_execz .LBB24_40
; %bb.23:
	v_add_co_u32_e32 v2, vcc, v5, v41
	v_addc_co_u32_e32 v3, vcc, 0, v6, vcc
	global_load_dword v7, v[2:3], off offset:64
	s_mov_b32 s14, 0x7f800000
	s_waitcnt vmcnt(0)
	v_mul_f32_e32 v8, v4, v7
	v_and_b32_e32 v7, 0x7f800000, v8
	v_cmp_ne_u32_e32 vcc, s14, v7
                                        ; implicit-def: $vgpr7
	s_and_saveexec_b64 s[14:15], vcc
	s_xor_b64 s[14:15], exec, s[14:15]
; %bb.24:
	v_bfe_u32 v7, v8, 16, 1
	s_movk_i32 s16, 0x7fff
	v_add3_u32 v7, v8, v7, s16
                                        ; implicit-def: $vgpr8
; %bb.25:
	s_andn2_saveexec_b64 s[14:15], s[14:15]
; %bb.26:
	v_mov_b32_e32 v7, 0
	v_or_b32_e32 v9, 0x10000, v8
	v_cmp_eq_u32_sdwa vcc, v8, v7 src0_sel:WORD_0 src1_sel:DWORD
	v_cndmask_b32_e32 v7, v9, v8, vcc
; %bb.27:
	s_or_b64 exec, exec, s[14:15]
	global_load_dword v8, v[2:3], off offset:68
	s_mov_b32 s14, 0x7f800000
	s_waitcnt vmcnt(0)
	v_mul_f32_e32 v9, v4, v8
	v_and_b32_e32 v8, 0x7f800000, v9
	v_cmp_ne_u32_e32 vcc, s14, v8
                                        ; implicit-def: $vgpr8
	s_and_saveexec_b64 s[14:15], vcc
	s_xor_b64 s[14:15], exec, s[14:15]
; %bb.28:
	v_bfe_u32 v8, v9, 16, 1
	s_movk_i32 s16, 0x7fff
	v_add3_u32 v8, v9, v8, s16
                                        ; implicit-def: $vgpr9
; %bb.29:
	s_andn2_saveexec_b64 s[14:15], s[14:15]
; %bb.30:
	v_mov_b32_e32 v8, 0
	v_or_b32_e32 v10, 0x10000, v9
	v_cmp_eq_u32_sdwa vcc, v9, v8 src0_sel:WORD_0 src1_sel:DWORD
	v_cndmask_b32_e32 v8, v10, v9, vcc
; %bb.31:
	s_or_b64 exec, exec, s[14:15]
	global_load_dword v2, v[2:3], off offset:72
	s_mov_b32 s14, 0x7f800000
	s_waitcnt vmcnt(0)
	v_mul_f32_e32 v3, v4, v2
	v_and_b32_e32 v2, 0x7f800000, v3
	v_cmp_ne_u32_e32 vcc, s14, v2
                                        ; implicit-def: $vgpr2
	s_and_saveexec_b64 s[14:15], vcc
	s_xor_b64 s[14:15], exec, s[14:15]
; %bb.32:
	v_bfe_u32 v2, v3, 16, 1
	s_movk_i32 s16, 0x7fff
	v_add3_u32 v2, v3, v2, s16
                                        ; implicit-def: $vgpr3
; %bb.33:
	s_andn2_saveexec_b64 s[14:15], s[14:15]
; %bb.34:
	v_mov_b32_e32 v2, 0
	v_or_b32_e32 v9, 0x10000, v3
	v_cmp_eq_u32_sdwa vcc, v3, v2 src0_sel:WORD_0 src1_sel:DWORD
	v_cndmask_b32_e32 v2, v9, v3, vcc
; %bb.35:
	s_or_b64 exec, exec, s[14:15]
	v_mov_b32_e32 v3, 0x4c
	v_lshl_or_b32 v3, v40, 2, v3
	v_add_co_u32_e32 v10, vcc, v5, v3
	v_addc_co_u32_e32 v11, vcc, 0, v6, vcc
	global_load_dword v3, v[10:11], off
	s_mov_b32 s14, 0x7f800000
	s_waitcnt vmcnt(0)
	v_mul_f32_e32 v3, v4, v3
	v_and_b32_e32 v9, 0x7f800000, v3
	v_cmp_ne_u32_e32 vcc, s14, v9
                                        ; implicit-def: $vgpr9
	s_and_saveexec_b64 s[14:15], vcc
	s_xor_b64 s[14:15], exec, s[14:15]
; %bb.36:
	v_bfe_u32 v9, v3, 16, 1
	s_movk_i32 s16, 0x7fff
	v_add3_u32 v9, v3, v9, s16
                                        ; implicit-def: $vgpr3
; %bb.37:
	s_andn2_saveexec_b64 s[14:15], s[14:15]
; %bb.38:
	v_mov_b32_e32 v9, 0
	v_or_b32_e32 v10, 0x10000, v3
	v_cmp_eq_u32_sdwa vcc, v3, v9 src0_sel:WORD_0 src1_sel:DWORD
	v_cndmask_b32_e32 v9, v10, v3, vcc
; %bb.39:
	s_or_b64 exec, exec, s[14:15]
	s_mov_b32 s14, 0x7060302
	v_perm_b32 v24, v8, v7, s14
	v_perm_b32 v25, v9, v2, s14
.LBB24_40:
	s_or_b64 exec, exec, s[12:13]
	v_mov_b32_e32 v27, 0
	v_mov_b32_e32 v26, v27
	s_and_saveexec_b64 s[12:13], s[2:3]
	s_cbranch_execz .LBB24_58
; %bb.41:
	v_add_co_u32_e32 v2, vcc, v5, v41
	v_addc_co_u32_e32 v3, vcc, 0, v6, vcc
	global_load_dword v7, v[2:3], off offset:128
	s_mov_b32 s14, 0x7f800000
	s_waitcnt vmcnt(0)
	v_mul_f32_e32 v8, v4, v7
	v_and_b32_e32 v7, 0x7f800000, v8
	v_cmp_ne_u32_e32 vcc, s14, v7
                                        ; implicit-def: $vgpr7
	s_and_saveexec_b64 s[14:15], vcc
	s_xor_b64 s[14:15], exec, s[14:15]
; %bb.42:
	v_bfe_u32 v7, v8, 16, 1
	s_movk_i32 s16, 0x7fff
	v_add3_u32 v7, v8, v7, s16
                                        ; implicit-def: $vgpr8
; %bb.43:
	s_andn2_saveexec_b64 s[14:15], s[14:15]
; %bb.44:
	v_mov_b32_e32 v7, 0
	v_or_b32_e32 v9, 0x10000, v8
	v_cmp_eq_u32_sdwa vcc, v8, v7 src0_sel:WORD_0 src1_sel:DWORD
	v_cndmask_b32_e32 v7, v9, v8, vcc
; %bb.45:
	s_or_b64 exec, exec, s[14:15]
	global_load_dword v8, v[2:3], off offset:132
	s_mov_b32 s14, 0x7f800000
	s_waitcnt vmcnt(0)
	v_mul_f32_e32 v9, v4, v8
	v_and_b32_e32 v8, 0x7f800000, v9
	v_cmp_ne_u32_e32 vcc, s14, v8
                                        ; implicit-def: $vgpr8
	s_and_saveexec_b64 s[14:15], vcc
	s_xor_b64 s[14:15], exec, s[14:15]
; %bb.46:
	v_bfe_u32 v8, v9, 16, 1
	s_movk_i32 s16, 0x7fff
	v_add3_u32 v8, v9, v8, s16
                                        ; implicit-def: $vgpr9
; %bb.47:
	s_andn2_saveexec_b64 s[14:15], s[14:15]
; %bb.48:
	v_mov_b32_e32 v8, 0
	v_or_b32_e32 v10, 0x10000, v9
	v_cmp_eq_u32_sdwa vcc, v9, v8 src0_sel:WORD_0 src1_sel:DWORD
	v_cndmask_b32_e32 v8, v10, v9, vcc
; %bb.49:
	s_or_b64 exec, exec, s[14:15]
	global_load_dword v2, v[2:3], off offset:136
	s_mov_b32 s14, 0x7f800000
	s_waitcnt vmcnt(0)
	v_mul_f32_e32 v3, v4, v2
	v_and_b32_e32 v2, 0x7f800000, v3
	v_cmp_ne_u32_e32 vcc, s14, v2
                                        ; implicit-def: $vgpr2
	s_and_saveexec_b64 s[14:15], vcc
	s_xor_b64 s[14:15], exec, s[14:15]
; %bb.50:
	v_bfe_u32 v2, v3, 16, 1
	s_movk_i32 s16, 0x7fff
	v_add3_u32 v2, v3, v2, s16
                                        ; implicit-def: $vgpr3
; %bb.51:
	s_andn2_saveexec_b64 s[14:15], s[14:15]
; %bb.52:
	v_mov_b32_e32 v2, 0
	v_or_b32_e32 v9, 0x10000, v3
	v_cmp_eq_u32_sdwa vcc, v3, v2 src0_sel:WORD_0 src1_sel:DWORD
	v_cndmask_b32_e32 v2, v9, v3, vcc
; %bb.53:
	s_or_b64 exec, exec, s[14:15]
	v_mov_b32_e32 v3, 0x8c
	v_lshl_or_b32 v3, v40, 2, v3
	v_add_co_u32_e32 v10, vcc, v5, v3
	v_addc_co_u32_e32 v11, vcc, 0, v6, vcc
	global_load_dword v3, v[10:11], off
	s_mov_b32 s14, 0x7f800000
	s_waitcnt vmcnt(0)
	v_mul_f32_e32 v3, v4, v3
	v_and_b32_e32 v9, 0x7f800000, v3
	v_cmp_ne_u32_e32 vcc, s14, v9
                                        ; implicit-def: $vgpr9
	s_and_saveexec_b64 s[14:15], vcc
	s_xor_b64 s[14:15], exec, s[14:15]
; %bb.54:
	v_bfe_u32 v9, v3, 16, 1
	s_movk_i32 s16, 0x7fff
	v_add3_u32 v9, v3, v9, s16
                                        ; implicit-def: $vgpr3
; %bb.55:
	s_andn2_saveexec_b64 s[14:15], s[14:15]
; %bb.56:
	v_mov_b32_e32 v9, 0
	v_or_b32_e32 v10, 0x10000, v3
	v_cmp_eq_u32_sdwa vcc, v3, v9 src0_sel:WORD_0 src1_sel:DWORD
	v_cndmask_b32_e32 v9, v10, v3, vcc
; %bb.57:
	s_or_b64 exec, exec, s[14:15]
	s_mov_b32 s14, 0x7060302
	v_perm_b32 v26, v8, v7, s14
	v_perm_b32 v27, v9, v2, s14
.LBB24_58:
	s_or_b64 exec, exec, s[12:13]
	v_mov_b32_e32 v29, 0
	v_mov_b32_e32 v28, v29
	s_and_saveexec_b64 s[12:13], s[2:3]
	s_cbranch_execz .LBB24_76
; %bb.59:
	v_add_co_u32_e32 v2, vcc, v5, v41
	v_addc_co_u32_e32 v3, vcc, 0, v6, vcc
	global_load_dword v7, v[2:3], off offset:192
	s_mov_b32 s14, 0x7f800000
	s_waitcnt vmcnt(0)
	v_mul_f32_e32 v8, v4, v7
	v_and_b32_e32 v7, 0x7f800000, v8
	v_cmp_ne_u32_e32 vcc, s14, v7
                                        ; implicit-def: $vgpr7
	s_and_saveexec_b64 s[14:15], vcc
	s_xor_b64 s[14:15], exec, s[14:15]
; %bb.60:
	v_bfe_u32 v7, v8, 16, 1
	s_movk_i32 s16, 0x7fff
	v_add3_u32 v7, v8, v7, s16
                                        ; implicit-def: $vgpr8
; %bb.61:
	s_andn2_saveexec_b64 s[14:15], s[14:15]
; %bb.62:
	v_mov_b32_e32 v7, 0
	v_or_b32_e32 v9, 0x10000, v8
	v_cmp_eq_u32_sdwa vcc, v8, v7 src0_sel:WORD_0 src1_sel:DWORD
	v_cndmask_b32_e32 v7, v9, v8, vcc
; %bb.63:
	s_or_b64 exec, exec, s[14:15]
	global_load_dword v8, v[2:3], off offset:196
	s_mov_b32 s14, 0x7f800000
	s_waitcnt vmcnt(0)
	v_mul_f32_e32 v9, v4, v8
	v_and_b32_e32 v8, 0x7f800000, v9
	v_cmp_ne_u32_e32 vcc, s14, v8
                                        ; implicit-def: $vgpr8
	s_and_saveexec_b64 s[14:15], vcc
	s_xor_b64 s[14:15], exec, s[14:15]
; %bb.64:
	v_bfe_u32 v8, v9, 16, 1
	s_movk_i32 s16, 0x7fff
	v_add3_u32 v8, v9, v8, s16
                                        ; implicit-def: $vgpr9
; %bb.65:
	s_andn2_saveexec_b64 s[14:15], s[14:15]
; %bb.66:
	v_mov_b32_e32 v8, 0
	v_or_b32_e32 v10, 0x10000, v9
	v_cmp_eq_u32_sdwa vcc, v9, v8 src0_sel:WORD_0 src1_sel:DWORD
	v_cndmask_b32_e32 v8, v10, v9, vcc
; %bb.67:
	s_or_b64 exec, exec, s[14:15]
	global_load_dword v2, v[2:3], off offset:200
	s_mov_b32 s14, 0x7f800000
	s_waitcnt vmcnt(0)
	v_mul_f32_e32 v3, v4, v2
	v_and_b32_e32 v2, 0x7f800000, v3
	v_cmp_ne_u32_e32 vcc, s14, v2
                                        ; implicit-def: $vgpr2
	s_and_saveexec_b64 s[14:15], vcc
	s_xor_b64 s[14:15], exec, s[14:15]
; %bb.68:
	v_bfe_u32 v2, v3, 16, 1
	s_movk_i32 s16, 0x7fff
	v_add3_u32 v2, v3, v2, s16
                                        ; implicit-def: $vgpr3
; %bb.69:
	s_andn2_saveexec_b64 s[14:15], s[14:15]
; %bb.70:
	v_mov_b32_e32 v2, 0
	v_or_b32_e32 v9, 0x10000, v3
	v_cmp_eq_u32_sdwa vcc, v3, v2 src0_sel:WORD_0 src1_sel:DWORD
	v_cndmask_b32_e32 v2, v9, v3, vcc
; %bb.71:
	s_or_b64 exec, exec, s[14:15]
	v_mov_b32_e32 v3, 0xcc
	v_lshl_or_b32 v3, v40, 2, v3
	v_add_co_u32_e32 v10, vcc, v5, v3
	v_addc_co_u32_e32 v11, vcc, 0, v6, vcc
	global_load_dword v3, v[10:11], off
	s_mov_b32 s14, 0x7f800000
	s_waitcnt vmcnt(0)
	v_mul_f32_e32 v3, v4, v3
	v_and_b32_e32 v4, 0x7f800000, v3
	v_cmp_ne_u32_e32 vcc, s14, v4
                                        ; implicit-def: $vgpr4
	s_and_saveexec_b64 s[14:15], vcc
	s_xor_b64 s[14:15], exec, s[14:15]
; %bb.72:
	v_bfe_u32 v4, v3, 16, 1
	s_movk_i32 s16, 0x7fff
	v_add3_u32 v4, v3, v4, s16
                                        ; implicit-def: $vgpr3
; %bb.73:
	s_andn2_saveexec_b64 s[14:15], s[14:15]
; %bb.74:
	v_mov_b32_e32 v4, 0
	v_or_b32_e32 v5, 0x10000, v3
	v_cmp_eq_u32_sdwa vcc, v3, v4 src0_sel:WORD_0 src1_sel:DWORD
	v_cndmask_b32_e32 v4, v5, v3, vcc
; %bb.75:
	s_or_b64 exec, exec, s[14:15]
	s_mov_b32 s14, 0x7060302
	v_perm_b32 v28, v8, v7, s14
	v_perm_b32 v29, v4, v2, s14
.LBB24_76:
	s_or_b64 exec, exec, s[12:13]
	s_mov_b32 s44, 0
	s_mov_b32 s45, s44
	;; [unrolled: 1-line block ×4, first 2 shown]
	v_pk_mov_b32 v[10:11], s[44:45], s[44:45] op_sel:[0,1]
	v_pk_mov_b32 v[12:13], s[46:47], s[46:47] op_sel:[0,1]
	s_min_u32 s60, s49, 16
	v_pk_mov_b32 v[2:3], v[10:11], v[10:11] op_sel:[0,1]
	v_pk_mov_b32 v[6:7], v[10:11], v[10:11] op_sel:[0,1]
	;; [unrolled: 1-line block ×3, first 2 shown]
	s_cmp_gt_i32 s58, -1
	v_cmp_gt_u32_e64 s[30:31], s49, v39
	v_cmp_eq_u32_e64 s[28:29], 0, v38
	v_or_b32_e32 v44, 1, v39
	v_or_b32_e32 v43, 2, v39
	;; [unrolled: 1-line block ×3, first 2 shown]
	v_pk_mov_b32 v[4:5], v[12:13], v[12:13] op_sel:[0,1]
	v_pk_mov_b32 v[8:9], v[12:13], v[12:13] op_sel:[0,1]
	;; [unrolled: 1-line block ×3, first 2 shown]
	s_cbranch_scc0 .LBB24_262
; %bb.77:
	s_load_dword s4, s[4:5], 0x80
	s_mul_i32 s14, s59, s48
	s_mul_hi_i32 s13, s59, s48
	s_mul_hi_u32 s15, s14, s7
	s_mul_i32 s13, s13, s7
	s_waitcnt lgkmcnt(0)
	s_add_i32 s5, s4, -1
	s_cmp_lt_u32 s5, 16
	s_cselect_b32 s61, s4, 16
	s_add_i32 s4, s59, -1
	s_add_i32 s62, s58, 1
	s_and_b32 s4, s59, s4
	s_cmp_lg_u32 s4, 0
	s_cselect_b64 s[46:47], -1, 0
	s_ashr_i32 s12, s7, 31
	s_mul_i32 s12, s14, s12
	s_add_i32 s12, s15, s12
	v_mbcnt_lo_u32_b32 v2, -1, 0
	s_ashr_i32 s5, s48, 31
	s_add_i32 s12, s12, s13
	s_mul_i32 s14, s14, s7
	v_mbcnt_hi_u32_b32 v2, -1, v2
	s_add_u32 s10, s14, s10
	v_lshlrev_b32_e32 v4, 2, v2
	v_lshlrev_b32_e32 v5, 5, v38
	s_addc_u32 s11, s12, s11
	v_and_b32_e32 v47, 0x1c0, v4
	v_lshlrev_b32_e32 v4, 1, v39
	v_or_b32_e32 v6, 0x800, v5
	v_lshlrev_b32_e32 v7, 1, v42
	s_lshl_b64 s[10:11], s[10:11], 2
	v_or_b32_e32 v48, v6, v4
	v_add_u32_e32 v49, v6, v7
	v_lshlrev_b32_e32 v6, 5, v0
	s_add_u32 s12, s36, s10
	v_or_b32_e32 v8, 0x600, v6
	s_addc_u32 s13, s37, s11
	v_add_u32_e32 v8, 0x800, v8
	s_add_u32 s10, s38, s10
	v_or_b32_e32 v50, v8, v4
	v_add_u32_e32 v51, v8, v7
	v_mov_b32_e32 v8, s13
	v_add_co_u32_e32 v52, vcc, s12, v1
	s_addc_u32 s11, s39, s11
	v_addc_co_u32_e32 v53, vcc, 0, v8, vcc
	v_mov_b32_e32 v8, s11
	v_add_co_u32_e32 v54, vcc, s10, v1
	v_addc_co_u32_e32 v55, vcc, 0, v8, vcc
	v_lshlrev_b32_e32 v8, 1, v40
	v_and_b32_e32 v3, 15, v2
	v_lshlrev_b32_e32 v1, 7, v38
	v_or_b32_e32 v9, 38, v8
	v_add_u32_e32 v58, v1, v9
	v_or_b32_e32 v9, 0x46, v8
	v_or_b32_e32 v8, 0x66, v8
	v_cmp_gt_u32_e32 vcc, 8, v3
	v_or_b32_e32 v56, v1, v4
	v_add_u32_e32 v57, v1, v7
	v_add_u32_e32 v59, v1, v9
	;; [unrolled: 1-line block ×3, first 2 shown]
	v_cndmask_b32_e64 v1, 0, 1, vcc
	s_mov_b32 s4, s48
	s_ashr_i32 s7, s6, 31
	v_lshlrev_b32_e32 v1, 3, v1
	v_cmp_gt_u32_e32 vcc, 12, v3
	s_lshl_b64 s[36:37], s[6:7], 8
	s_lshl_b64 s[38:39], s[4:5], 2
	v_add_lshl_u32 v61, v1, v2, 2
	v_cndmask_b32_e64 v1, 0, 1, vcc
	s_cmp_lg_u32 s8, 0
	v_lshlrev_b32_e32 v1, 2, v1
	v_cmp_gt_u32_e32 vcc, 14, v3
	s_cselect_b64 s[54:55], -1, 0
	s_ashr_i32 s4, s9, 31
	v_add_lshl_u32 v62, v1, v2, 2
	v_cndmask_b32_e64 v1, 0, 1, vcc
	s_mul_hi_u32 s5, s58, s9
	s_mul_i32 s4, s58, s4
	v_lshlrev_b32_e32 v1, 1, v1
	v_cmp_ne_u32_e32 vcc, 15, v3
	s_add_i32 s5, s5, s4
	s_mul_i32 s4, s58, s9
	v_add_lshl_u32 v63, v1, v2, 2
	v_addc_co_u32_e32 v1, vcc, 0, v2, vcc
	s_add_i32 s48, s59, 0x7fffffff
	s_lshl_b64 s[4:5], s[4:5], 2
	v_lshlrev_b32_e32 v64, 2, v1
	v_lshlrev_b32_e32 v1, 2, v40
	s_add_u32 s63, s40, s4
	s_movk_i32 s4, 0x100
	v_add_u32_e32 v66, 0x1200, v1
	v_add_u32_e32 v67, 0x1280, v1
	v_lshlrev_b32_e32 v1, 2, v42
	v_cmp_gt_u32_e64 s[8:9], s4, v0
	v_add_u32_e32 v68, 0x1280, v1
	v_add_u32_e32 v69, 0x1300, v1
	;; [unrolled: 1-line block ×5, first 2 shown]
	v_lshlrev_b32_e32 v1, 1, v38
	v_lshlrev_b32_e32 v2, 5, v39
	s_movk_i32 s4, 0x1000
	s_addc_u32 s64, s41, s5
	v_or3_b32 v73, v2, v1, s4
	v_lshl_or_b32 v1, v42, 5, v1
	s_abs_i32 s65, s59
	v_add_u32_e32 v74, 0x1000, v1
	v_cvt_f32_u32_e32 v1, s65
	v_or_b32_e32 v2, 0x1000, v5
	v_or_b32_e32 v75, v2, v4
	v_add_u32_e32 v76, v2, v7
	v_rcp_iflag_f32_e32 v2, v1
	s_sub_i32 s4, 0, s65
	v_mov_b32_e32 v45, 0x12c0
	v_mov_b32_e32 v79, 0
	v_mul_f32_e32 v2, 0x4f7ffffe, v2
	v_cvt_u32_f32_e32 v2, v2
	v_lshl_or_b32 v46, v38, 2, v45
	v_cmp_le_u32_e64 s[10:11], s49, v39
	v_cmp_gt_u32_e64 s[12:13], s60, v44
	v_mul_lo_u32 v3, s4, v2
	v_mul_hi_u32 v3, v2, v3
	v_cmp_le_u32_e64 s[14:15], s60, v44
	v_cmp_gt_u32_e64 s[16:17], s60, v43
	v_cmp_le_u32_e64 s[18:19], s60, v43
	v_cmp_gt_u32_e64 s[20:21], s60, v42
	v_cmp_le_u32_e64 s[22:23], s60, v42
	v_or_b32_e32 v65, 0x1200, v41
	v_cmp_gt_u32_e64 s[24:25], 64, v0
	v_or_b32_e32 v1, 64, v0
	s_mov_b32 s66, s38
	s_mov_b32 s67, s39
	;; [unrolled: 1-line block ×4, first 2 shown]
	v_add_u32_e32 v77, v2, v3
	v_add_u32_e32 v78, 0x800, v6
	s_mov_b32 s70, 0x7f800000
	s_movk_i32 s71, 0x7fff
	s_mov_b32 s72, 0xffff
	s_mov_b32 s73, 0x7060302
	;; [unrolled: 1-line block ×7, first 2 shown]
	v_mov_b32_e32 v10, 0
	v_mov_b32_e32 v11, v79
	;; [unrolled: 1-line block ×16, first 2 shown]
	v_or_b32_e32 v80, 0x1280, v41
	v_or_b32_e32 v81, 0x1300, v41
	;; [unrolled: 1-line block ×4, first 2 shown]
	v_lshlrev_b32_e32 v84, 1, v0
	v_mov_b32_e32 v31, 0
	s_branch .LBB24_79
.LBB24_78:                              ;   in Loop: Header=BB24_79 Depth=1
	s_or_b64 exec, exec, s[4:5]
	v_mul_f32_e32 v10, v10, v85
	v_mul_f32_e32 v11, v11, v86
	;; [unrolled: 1-line block ×16, first 2 shown]
	v_mfma_f32_16x16x16bf16_1k v[10:13], v[18:19], v[20:21], v[10:13]
	s_add_i32 s78, s78, s61
	s_add_i32 s77, s77, 1
	s_sub_i32 s76, s76, s61
	s_cmp_gt_i32 s78, s58
	s_barrier
	v_mfma_f32_16x16x16bf16_1k v[2:5], v[18:19], v[32:33], v[2:5]
	v_mfma_f32_16x16x16bf16_1k v[6:9], v[18:19], v[34:35], v[6:9]
	;; [unrolled: 1-line block ×3, first 2 shown]
	s_cbranch_scc1 .LBB24_262
.LBB24_79:                              ; =>This Loop Header: Depth=1
                                        ;     Child Loop BB24_95 Depth 2
                                        ;     Child Loop BB24_100 Depth 2
	s_sub_i32 s4, s62, s78
	s_min_i32 s79, s4, s61
	v_cmp_le_i32_e64 s[40:41], s79, v38
	v_cmp_gt_i32_e64 s[26:27], s79, v38
	v_add_u32_e32 v30, s78, v38
	s_mov_b64 s[6:7], 0
                                        ; implicit-def: $vgpr18
	s_and_saveexec_b64 s[4:5], s[26:27]
	s_xor_b64 s[4:5], exec, s[4:5]
	s_cbranch_execz .LBB24_85
; %bb.80:                               ;   in Loop: Header=BB24_79 Depth=1
	s_andn2_b64 vcc, exec, s[54:55]
	v_mov_b32_e32 v18, v30
	s_cbranch_vccnz .LBB24_89
; %bb.81:                               ;   in Loop: Header=BB24_79 Depth=1
	s_and_b64 vcc, exec, s[46:47]
	s_cbranch_vccz .LBB24_87
; %bb.82:                               ;   in Loop: Header=BB24_79 Depth=1
	v_cmp_le_i32_e32 vcc, s59, v30
	v_mov_b32_e32 v18, v30
	s_and_saveexec_b64 s[6:7], vcc
; %bb.83:                               ;   in Loop: Header=BB24_79 Depth=1
	v_mul_hi_u32 v18, v30, v77
	v_mul_lo_u32 v18, v18, s65
	v_sub_u32_e32 v18, v30, v18
	v_subrev_u32_e32 v19, s65, v18
	v_cmp_le_u32_e32 vcc, s65, v18
	v_cndmask_b32_e32 v18, v18, v19, vcc
	v_subrev_u32_e32 v19, s65, v18
	v_cmp_le_u32_e32 vcc, s65, v18
	v_cndmask_b32_e32 v18, v18, v19, vcc
; %bb.84:                               ;   in Loop: Header=BB24_79 Depth=1
	s_or_b64 exec, exec, s[6:7]
	s_cbranch_execz .LBB24_88
	s_branch .LBB24_89
.LBB24_85:                              ;   in Loop: Header=BB24_79 Depth=1
	s_andn2_saveexec_b64 s[4:5], s[4:5]
	s_cbranch_execz .LBB24_90
.LBB24_86:                              ;   in Loop: Header=BB24_79 Depth=1
	s_andn2_b64 s[6:7], s[6:7], exec
	s_and_b64 s[34:35], s[0:1], exec
	v_mov_b32_e32 v18, 0
	s_or_b64 s[6:7], s[6:7], s[34:35]
	s_or_b64 exec, exec, s[4:5]
	s_and_saveexec_b64 s[4:5], s[6:7]
	s_cbranch_execnz .LBB24_91
	s_branch .LBB24_92
.LBB24_87:                              ;   in Loop: Header=BB24_79 Depth=1
                                        ; implicit-def: $vgpr18
.LBB24_88:                              ;   in Loop: Header=BB24_79 Depth=1
	v_and_b32_e32 v18, s48, v30
.LBB24_89:                              ;   in Loop: Header=BB24_79 Depth=1
	s_and_b64 s[6:7], s[0:1], exec
	s_andn2_saveexec_b64 s[4:5], s[4:5]
	s_cbranch_execnz .LBB24_86
.LBB24_90:                              ;   in Loop: Header=BB24_79 Depth=1
	s_or_b64 exec, exec, s[4:5]
	s_and_saveexec_b64 s[4:5], s[6:7]
	s_cbranch_execz .LBB24_92
.LBB24_91:                              ;   in Loop: Header=BB24_79 Depth=1
	ds_write_b32 v46, v18
.LBB24_92:                              ;   in Loop: Header=BB24_79 Depth=1
	s_or_b64 exec, exec, s[4:5]
	s_min_i32 s80, s79, 16
	s_lshl_b32 s45, s80, 6
	v_cmp_gt_i32_e32 vcc, s45, v0
	s_waitcnt lgkmcnt(0)
	s_barrier
	s_and_saveexec_b64 s[56:57], vcc
	s_cbranch_execz .LBB24_108
; %bb.93:                               ;   in Loop: Header=BB24_79 Depth=1
	s_mul_i32 s4, s61, s77
	s_sub_i32 s4, s62, s4
	v_mov_b32_e32 v18, s4
	v_min3_i32 v18, s61, v18, 16
	v_readfirstlane_b32 s4, v18
	s_add_i32 s4, s4, -1
	s_and_b32 s81, s4, 0x3ffffff
	s_cmp_lg_u32 s81, 0
	s_cbranch_scc0 .LBB24_97
; %bb.94:                               ;   in Loop: Header=BB24_79 Depth=1
	v_mov_b32_e32 v18, s76
	v_min3_i32 v18, s61, v18, 16
	v_readfirstlane_b32 s4, v18
	s_add_i32 s4, s4, -1
	s_and_b32 s4, s4, 0x3ffffff
	s_add_i32 s4, s4, 1
	s_and_b32 s82, s4, 0x7fffffe
	v_pk_mov_b32 v[18:19], v[0:1], v[0:1] op_sel:[0,1]
.LBB24_95:                              ;   Parent Loop BB24_79 Depth=1
                                        ; =>  This Inner Loop Header: Depth=2
	v_lshrrev_b32_e32 v85, 6, v18
	v_lshl_add_u32 v34, v85, 2, v45
	ds_read2_b32 v[34:35], v34 offset1:1
	v_mov_b32_e32 v20, s68
	v_mov_b32_e32 v21, s69
	;; [unrolled: 1-line block ×4, first 2 shown]
	s_waitcnt lgkmcnt(0)
	v_ashrrev_i32_e32 v37, 31, v35
	v_ashrrev_i32_e32 v36, 31, v34
	v_mad_u64_u32 v[20:21], s[4:5], s66, v35, v[20:21]
	v_mul_lo_u32 v35, s67, v35
	v_mul_lo_u32 v37, s66, v37
	v_mad_u64_u32 v[32:33], s[4:5], s38, v34, v[32:33]
	v_mul_lo_u32 v86, s39, v34
	v_mul_lo_u32 v87, s38, v36
	v_add_co_u32_e32 v34, vcc, v52, v20
	v_add_co_u32_e64 v20, s[6:7], v54, v20
	v_add3_u32 v21, v35, v21, v37
	v_add_co_u32_e64 v36, s[4:5], v54, v32
	v_add_co_u32_e64 v32, s[34:35], v52, v32
	v_add3_u32 v37, v86, v33, v87
	v_addc_co_u32_e32 v35, vcc, v53, v21, vcc
	v_addc_co_u32_e64 v21, vcc, v55, v21, s[6:7]
	v_addc_co_u32_e64 v33, s[34:35], v53, v37, s[34:35]
	v_addc_co_u32_e64 v37, vcc, v55, v37, s[4:5]
	global_load_dword v34, v[34:35], off
	s_nop 0
	global_load_dword v35, v[36:37], off
	s_nop 0
	;; [unrolled: 2-line block ×3, first 2 shown]
	global_load_dword v21, v[32:33], off
	v_lshl_add_u32 v33, v85, 7, v84
	v_lshlrev_b32_e32 v36, 1, v85
	v_lshlrev_b32_e32 v32, 1, v19
	s_add_i32 s82, s82, -2
	v_add_u32_e32 v19, 0x80, v19
	v_add_u32_e32 v18, 0x80, v18
	v_and_b32_e32 v32, 0xffffff80, v32
	s_cmp_lg_u32 s82, 0
	v_add_u32_e32 v32, v32, v84
	v_lshl_add_u32 v36, v0, 5, v36
	s_waitcnt vmcnt(3)
	v_bfe_u32 v86, v34, 16, 1
	v_or_b32_e32 v88, 0x10000, v34
	v_cmp_eq_u32_sdwa vcc, v34, v79 src0_sel:WORD_0 src1_sel:DWORD
	s_waitcnt vmcnt(0)
	v_and_b32_e32 v85, 0x7f800000, v21
	v_bfe_u32 v87, v21, 16, 1
	v_or_b32_e32 v89, 0x10000, v21
	v_and_b32_e32 v90, 0x7f800000, v35
	v_and_b32_e32 v91, 0x7f800000, v20
	v_bfe_u32 v92, v35, 16, 1
	v_bfe_u32 v93, v20, 16, 1
	v_or_b32_e32 v94, 0x10000, v35
	v_cmp_eq_u32_sdwa s[4:5], v35, v79 src0_sel:WORD_0 src1_sel:DWORD
	v_or_b32_e32 v95, 0x10000, v20
	v_cmp_eq_u32_sdwa s[6:7], v20, v79 src0_sel:WORD_0 src1_sel:DWORD
	v_cmp_eq_u32_sdwa s[34:35], v21, v79 src0_sel:WORD_0 src1_sel:DWORD
	v_and_b32_e32 v37, 0x7f800000, v34
	v_add3_u32 v87, v21, v87, s71
	v_cndmask_b32_e64 v21, v89, v21, s[34:35]
	v_cmp_eq_u32_e64 s[34:35], s70, v85
	v_add3_u32 v85, v34, v86, s71
	v_cndmask_b32_e32 v34, v88, v34, vcc
	v_add3_u32 v86, v20, v93, s71
	v_cndmask_b32_e64 v20, v95, v20, s[6:7]
	v_cmp_eq_u32_e32 vcc, s70, v91
	v_add3_u32 v88, v35, v92, s71
	v_cndmask_b32_e64 v35, v94, v35, s[4:5]
	v_cmp_eq_u32_e64 s[4:5], s70, v90
	v_cmp_eq_u32_e64 s[6:7], s70, v37
	v_cndmask_b32_e64 v21, v87, v21, s[34:35]
	v_cndmask_b32_e64 v35, v88, v35, s[4:5]
	v_cndmask_b32_e32 v20, v86, v20, vcc
	v_cndmask_b32_e64 v34, v85, v34, s[6:7]
	v_perm_b32 v20, v20, v35, s73
	ds_write_b16_d16_hi v33, v21
	ds_write_b16_d16_hi v32, v34
	ds_write_b32 v36, v20 offset:2048
	s_cbranch_scc1 .LBB24_95
; %bb.96:                               ;   in Loop: Header=BB24_79 Depth=1
	s_add_i32 s81, s81, 1
	s_and_b32 s4, s81, 0x7fffffe
	s_cmp_lg_u32 s81, s4
	v_lshl_or_b32 v18, s4, 6, v0
	s_cselect_b64 s[4:5], -1, 0
	s_and_b64 vcc, exec, s[4:5]
	s_cbranch_vccnz .LBB24_98
	s_branch .LBB24_108
.LBB24_97:                              ;   in Loop: Header=BB24_79 Depth=1
	v_mov_b32_e32 v18, v0
	s_cbranch_execz .LBB24_108
.LBB24_98:                              ;   in Loop: Header=BB24_79 Depth=1
	v_lshrrev_b32_e32 v21, 6, v18
	v_lshl_add_u32 v19, v21, 1, v78
	v_lshl_add_u32 v20, v21, 7, v84
	;; [unrolled: 1-line block ×3, first 2 shown]
	s_mov_b64 s[4:5], 0
	s_branch .LBB24_100
.LBB24_99:                              ;   in Loop: Header=BB24_100 Depth=2
	s_or_b64 exec, exec, s[6:7]
	v_add_u32_e32 v18, 64, v18
	v_cmp_le_i32_e32 vcc, s45, v18
	ds_write_b16_d16_hi v20, v33
	ds_write_b16_d16_hi v19, v34
	v_add_u32_e32 v19, 2, v19
	v_add_u32_e32 v20, 0x80, v20
	s_or_b64 s[4:5], vcc, s[4:5]
	v_add_u32_e32 v21, 4, v21
	s_andn2_b64 exec, exec, s[4:5]
	s_cbranch_execz .LBB24_108
.LBB24_100:                             ;   Parent Loop BB24_79 Depth=1
                                        ; =>  This Inner Loop Header: Depth=2
	ds_read_b32 v34, v21
	v_pk_mov_b32 v[32:33], s[36:37], s[36:37] op_sel:[0,1]
	s_waitcnt lgkmcnt(0)
	v_ashrrev_i32_e32 v35, 31, v34
	v_mad_u64_u32 v[32:33], s[6:7], s38, v34, v[32:33]
	v_mul_lo_u32 v34, s39, v34
	v_mul_lo_u32 v35, s38, v35
	v_add3_u32 v33, v34, v33, v35
	v_add_co_u32_e32 v34, vcc, v52, v32
	v_addc_co_u32_e32 v35, vcc, v53, v33, vcc
	global_load_dword v34, v[34:35], off
	v_add_co_u32_e32 v32, vcc, v54, v32
	v_addc_co_u32_e32 v33, vcc, v55, v33, vcc
	global_load_dword v32, v[32:33], off
	s_waitcnt vmcnt(1)
	v_and_b32_e32 v33, 0x7f800000, v34
	v_cmp_ne_u32_e32 vcc, s70, v33
                                        ; implicit-def: $vgpr33
	s_and_saveexec_b64 s[6:7], vcc
	s_xor_b64 s[6:7], exec, s[6:7]
; %bb.101:                              ;   in Loop: Header=BB24_100 Depth=2
	v_bfe_u32 v33, v34, 16, 1
	v_add3_u32 v33, v34, v33, s71
                                        ; implicit-def: $vgpr34
; %bb.102:                              ;   in Loop: Header=BB24_100 Depth=2
	s_andn2_saveexec_b64 s[6:7], s[6:7]
; %bb.103:                              ;   in Loop: Header=BB24_100 Depth=2
	v_or_b32_e32 v33, 0x10000, v34
	v_cmp_eq_u32_sdwa vcc, v34, v79 src0_sel:WORD_0 src1_sel:DWORD
	v_cndmask_b32_e32 v33, v33, v34, vcc
; %bb.104:                              ;   in Loop: Header=BB24_100 Depth=2
	s_or_b64 exec, exec, s[6:7]
	s_waitcnt vmcnt(0)
	v_and_b32_e32 v34, 0x7f800000, v32
	v_cmp_ne_u32_e32 vcc, s70, v34
                                        ; implicit-def: $vgpr34
	s_and_saveexec_b64 s[6:7], vcc
	s_xor_b64 s[6:7], exec, s[6:7]
; %bb.105:                              ;   in Loop: Header=BB24_100 Depth=2
	v_bfe_u32 v34, v32, 16, 1
	v_add3_u32 v34, v32, v34, s71
                                        ; implicit-def: $vgpr32
; %bb.106:                              ;   in Loop: Header=BB24_100 Depth=2
	s_andn2_saveexec_b64 s[6:7], s[6:7]
	s_cbranch_execz .LBB24_99
; %bb.107:                              ;   in Loop: Header=BB24_100 Depth=2
	v_or_b32_e32 v34, 0x10000, v32
	v_cmp_eq_u32_sdwa vcc, v32, v79 src0_sel:WORD_0 src1_sel:DWORD
	v_cndmask_b32_e32 v34, v34, v32, vcc
	s_branch .LBB24_99
.LBB24_108:                             ;   in Loop: Header=BB24_79 Depth=1
	s_or_b64 exec, exec, s[56:57]
	v_mov_b32_e32 v32, 0
	v_mov_b32_e32 v18, 0
	;; [unrolled: 1-line block ×3, first 2 shown]
	s_waitcnt lgkmcnt(0)
	s_barrier
	s_and_saveexec_b64 s[4:5], s[26:27]
	s_cbranch_execz .LBB24_112
; %bb.109:                              ;   in Loop: Header=BB24_79 Depth=1
	ds_read_u16 v19, v56 offset:4
	ds_read_b32 v18, v56
	s_waitcnt lgkmcnt(1)
	v_and_b32_e32 v19, 0xffff, v19
	s_and_saveexec_b64 s[6:7], s[8:9]
	s_cbranch_execz .LBB24_111
; %bb.110:                              ;   in Loop: Header=BB24_79 Depth=1
	ds_read_u16 v20, v57
	s_waitcnt lgkmcnt(0)
	v_perm_b32 v19, v20, v19, s74
.LBB24_111:                             ;   in Loop: Header=BB24_79 Depth=1
	s_or_b64 exec, exec, s[6:7]
.LBB24_112:                             ;   in Loop: Header=BB24_79 Depth=1
	s_or_b64 exec, exec, s[4:5]
	s_waitcnt lgkmcnt(0)
	v_mfma_f32_16x16x16bf16_1k v[18:21], v[22:23], v[18:19], 0
	v_mov_b32_e32 v33, 0
	s_and_saveexec_b64 s[4:5], s[26:27]
	s_cbranch_execz .LBB24_116
; %bb.113:                              ;   in Loop: Header=BB24_79 Depth=1
	ds_read_u16 v33, v56 offset:36
	ds_read_b32 v32, v56 offset:32
	s_waitcnt lgkmcnt(1)
	v_and_b32_e32 v33, 0xffff, v33
	s_and_saveexec_b64 s[6:7], s[8:9]
	s_cbranch_execz .LBB24_115
; %bb.114:                              ;   in Loop: Header=BB24_79 Depth=1
	ds_read_u16 v34, v58
	s_waitcnt lgkmcnt(0)
	v_perm_b32 v33, v34, v33, s74
.LBB24_115:                             ;   in Loop: Header=BB24_79 Depth=1
	s_or_b64 exec, exec, s[6:7]
.LBB24_116:                             ;   in Loop: Header=BB24_79 Depth=1
	s_or_b64 exec, exec, s[4:5]
	s_waitcnt lgkmcnt(0)
	v_mfma_f32_16x16x16bf16_1k v[18:21], v[24:25], v[32:33], v[18:21]
	v_mov_b32_e32 v34, 0
	v_mov_b32_e32 v36, 0
	;; [unrolled: 1-line block ×3, first 2 shown]
	s_and_saveexec_b64 s[4:5], s[26:27]
	s_cbranch_execz .LBB24_120
; %bb.117:                              ;   in Loop: Header=BB24_79 Depth=1
	ds_read_u16 v32, v56 offset:68
	ds_read_b32 v36, v56 offset:64
	s_waitcnt lgkmcnt(1)
	v_and_b32_e32 v37, 0xffff, v32
	s_and_saveexec_b64 s[6:7], s[8:9]
	s_cbranch_execz .LBB24_119
; %bb.118:                              ;   in Loop: Header=BB24_79 Depth=1
	ds_read_u16 v32, v59
	s_waitcnt lgkmcnt(0)
	v_perm_b32 v37, v32, v37, s74
.LBB24_119:                             ;   in Loop: Header=BB24_79 Depth=1
	s_or_b64 exec, exec, s[6:7]
.LBB24_120:                             ;   in Loop: Header=BB24_79 Depth=1
	s_or_b64 exec, exec, s[4:5]
	s_waitcnt lgkmcnt(0)
	v_mfma_f32_16x16x16bf16_1k v[18:21], v[26:27], v[36:37], v[18:21]
	v_mov_b32_e32 v35, 0
	s_and_saveexec_b64 s[4:5], s[26:27]
	s_cbranch_execz .LBB24_124
; %bb.121:                              ;   in Loop: Header=BB24_79 Depth=1
	ds_read_u16 v32, v56 offset:100
	ds_read_b32 v34, v56 offset:96
	s_waitcnt lgkmcnt(1)
	v_and_b32_e32 v35, 0xffff, v32
	s_and_saveexec_b64 s[6:7], s[8:9]
	s_cbranch_execz .LBB24_123
; %bb.122:                              ;   in Loop: Header=BB24_79 Depth=1
	ds_read_u16 v32, v60
	s_waitcnt lgkmcnt(0)
	v_perm_b32 v35, v32, v35, s74
.LBB24_123:                             ;   in Loop: Header=BB24_79 Depth=1
	s_or_b64 exec, exec, s[6:7]
.LBB24_124:                             ;   in Loop: Header=BB24_79 Depth=1
	s_or_b64 exec, exec, s[4:5]
	s_waitcnt lgkmcnt(0)
	v_mfma_f32_16x16x16bf16_1k v[18:21], v[28:29], v[34:35], v[18:21]
	v_mov_b32_e32 v36, 0
	s_and_saveexec_b64 s[4:5], s[26:27]
	s_cbranch_execz .LBB24_126
; %bb.125:                              ;   in Loop: Header=BB24_79 Depth=1
	v_lshlrev_b64 v[32:33], 2, v[30:31]
	v_mov_b32_e32 v30, s64
	v_add_co_u32_e32 v32, vcc, s63, v32
	v_addc_co_u32_e32 v33, vcc, v30, v33, vcc
	global_load_dword v36, v[32:33], off
.LBB24_126:                             ;   in Loop: Header=BB24_79 Depth=1
	s_or_b64 exec, exec, s[4:5]
	s_mov_b64 s[4:5], s[40:41]
                                        ; implicit-def: $vgpr32
	s_and_saveexec_b64 s[6:7], s[26:27]
	s_cbranch_execz .LBB24_128
; %bb.127:                              ;   in Loop: Header=BB24_79 Depth=1
	s_andn2_b64 s[4:5], s[40:41], exec
	s_and_b64 s[34:35], s[10:11], exec
	s_waitcnt vmcnt(0)
	s_nop 0
	v_add_f32_e32 v32, v36, v18
	s_or_b64 s[4:5], s[4:5], s[34:35]
	s_or_b64 exec, exec, s[6:7]
	s_and_saveexec_b64 s[6:7], s[4:5]
	s_branch .LBB24_129
.LBB24_128:                             ;   in Loop: Header=BB24_79 Depth=1
	s_or_b64 exec, exec, s[6:7]
	s_and_saveexec_b64 s[6:7], s[4:5]
.LBB24_129:                             ;   in Loop: Header=BB24_79 Depth=1
	v_mov_b32_e32 v32, 0xff800000
; %bb.130:                              ;   in Loop: Header=BB24_79 Depth=1
	s_or_b64 exec, exec, s[6:7]
	s_mov_b64 s[4:5], s[40:41]
                                        ; implicit-def: $vgpr18
	s_and_saveexec_b64 s[6:7], s[26:27]
	s_cbranch_execz .LBB24_132
; %bb.131:                              ;   in Loop: Header=BB24_79 Depth=1
	s_andn2_b64 s[4:5], s[40:41], exec
	s_and_b64 s[34:35], s[14:15], exec
	s_waitcnt vmcnt(0)
	v_add_f32_e32 v18, v36, v19
	s_or_b64 s[4:5], s[4:5], s[34:35]
	s_or_b64 exec, exec, s[6:7]
	s_and_saveexec_b64 s[6:7], s[4:5]
	s_branch .LBB24_133
.LBB24_132:                             ;   in Loop: Header=BB24_79 Depth=1
	s_or_b64 exec, exec, s[6:7]
	s_and_saveexec_b64 s[6:7], s[4:5]
.LBB24_133:                             ;   in Loop: Header=BB24_79 Depth=1
	v_mov_b32_e32 v18, 0xff800000
; %bb.134:                              ;   in Loop: Header=BB24_79 Depth=1
	s_or_b64 exec, exec, s[6:7]
	s_mov_b64 s[4:5], s[40:41]
                                        ; implicit-def: $vgpr33
	s_and_saveexec_b64 s[6:7], s[26:27]
	s_cbranch_execz .LBB24_136
; %bb.135:                              ;   in Loop: Header=BB24_79 Depth=1
	s_andn2_b64 s[4:5], s[40:41], exec
	s_and_b64 s[34:35], s[18:19], exec
	s_waitcnt vmcnt(0)
	v_add_f32_e32 v33, v36, v20
	s_or_b64 s[4:5], s[4:5], s[34:35]
	s_or_b64 exec, exec, s[6:7]
	s_and_saveexec_b64 s[6:7], s[4:5]
	s_branch .LBB24_137
.LBB24_136:                             ;   in Loop: Header=BB24_79 Depth=1
	s_or_b64 exec, exec, s[6:7]
	s_and_saveexec_b64 s[6:7], s[4:5]
.LBB24_137:                             ;   in Loop: Header=BB24_79 Depth=1
	v_mov_b32_e32 v33, 0xff800000
; %bb.138:                              ;   in Loop: Header=BB24_79 Depth=1
	s_or_b64 exec, exec, s[6:7]
	s_mov_b64 s[4:5], s[40:41]
                                        ; implicit-def: $vgpr30
	s_and_saveexec_b64 s[6:7], s[26:27]
	s_cbranch_execz .LBB24_140
; %bb.139:                              ;   in Loop: Header=BB24_79 Depth=1
	s_andn2_b64 s[4:5], s[40:41], exec
	s_and_b64 s[34:35], s[22:23], exec
	s_waitcnt vmcnt(0)
	v_add_f32_e32 v30, v36, v21
	s_or_b64 s[4:5], s[4:5], s[34:35]
	s_or_b64 exec, exec, s[6:7]
	s_and_saveexec_b64 s[6:7], s[4:5]
	s_cbranch_execnz .LBB24_141
	s_branch .LBB24_142
.LBB24_140:                             ;   in Loop: Header=BB24_79 Depth=1
	s_or_b64 exec, exec, s[6:7]
	s_and_saveexec_b64 s[6:7], s[4:5]
.LBB24_141:                             ;   in Loop: Header=BB24_79 Depth=1
	v_mov_b32_e32 v30, 0xff800000
.LBB24_142:                             ;   in Loop: Header=BB24_79 Depth=1
	s_or_b64 exec, exec, s[6:7]
	ds_bpermute_b32 v19, v61, v32
	v_max_f32_e32 v20, v32, v32
	ds_bpermute_b32 v21, v61, v18
	v_max_f32_e32 v34, v18, v18
	ds_bpermute_b32 v35, v61, v33
	s_waitcnt lgkmcnt(2)
	v_max_f32_e32 v19, v19, v19
	v_max_f32_e32 v19, v20, v19
	ds_bpermute_b32 v20, v62, v19
	s_waitcnt lgkmcnt(2)
	v_max_f32_e32 v21, v21, v21
	v_max_f32_e32 v21, v34, v21
	ds_bpermute_b32 v34, v62, v21
	ds_bpermute_b32 v37, v61, v30
	s_waitcnt lgkmcnt(2)
	v_max_f32_e32 v20, v20, v20
	v_max_f32_e32 v19, v19, v20
	ds_bpermute_b32 v20, v63, v19
	s_waitcnt lgkmcnt(2)
	v_max_f32_e32 v34, v34, v34
	v_max_f32_e32 v21, v21, v34
	ds_bpermute_b32 v34, v63, v21
	s_waitcnt vmcnt(0)
	v_max_f32_e32 v36, v33, v33
	s_waitcnt lgkmcnt(1)
	v_max_f32_e32 v20, v20, v20
	v_max_f32_e32 v19, v19, v20
	ds_bpermute_b32 v20, v64, v19
	v_max_f32_e32 v35, v35, v35
	s_waitcnt lgkmcnt(1)
	v_max_f32_e32 v34, v34, v34
	v_max_f32_e32 v34, v21, v34
	ds_bpermute_b32 v85, v64, v34
	s_waitcnt lgkmcnt(1)
	v_max_f32_e32 v20, v20, v20
	v_max_f32_e32 v19, v19, v20
	ds_bpermute_b32 v21, v47, v19
	v_max_f32_e32 v19, v36, v35
	ds_bpermute_b32 v20, v62, v19
	v_max_f32_e32 v35, v37, v37
	v_max_f32_e32 v36, v30, v30
	;; [unrolled: 1-line block ×3, first 2 shown]
	ds_bpermute_b32 v36, v62, v35
	s_waitcnt lgkmcnt(1)
	v_max_f32_e32 v20, v20, v20
	v_max_f32_e32 v19, v19, v20
	ds_bpermute_b32 v20, v63, v19
	v_max_f32_e32 v37, v85, v85
	s_waitcnt lgkmcnt(1)
	v_max_f32_e32 v36, v36, v36
	v_max_f32_e32 v35, v35, v36
	ds_bpermute_b32 v36, v63, v35
	s_waitcnt lgkmcnt(1)
	v_max_f32_e32 v20, v20, v20
	v_max_f32_e32 v19, v19, v20
	ds_bpermute_b32 v20, v64, v19
	v_max_f32_e32 v34, v34, v37
	s_waitcnt lgkmcnt(1)
	v_max_f32_e32 v36, v36, v36
	v_max_f32_e32 v35, v35, v36
	ds_bpermute_b32 v36, v64, v35
	s_waitcnt lgkmcnt(1)
	v_max_f32_e32 v20, v20, v20
	v_max_f32_e32 v19, v19, v20
	ds_bpermute_b32 v20, v47, v19
	ds_bpermute_b32 v34, v47, v34
	s_waitcnt lgkmcnt(2)
	v_max_f32_e32 v19, v36, v36
	v_max_f32_e32 v19, v35, v19
	ds_bpermute_b32 v19, v47, v19
	s_and_saveexec_b64 s[4:5], s[28:29]
	s_cbranch_execz .LBB24_147
; %bb.143:                              ;   in Loop: Header=BB24_79 Depth=1
	ds_read_b32 v35, v80
	v_max_f32_e32 v21, v21, v21
	s_waitcnt lgkmcnt(0)
	ds_write_b32 v65, v35
	v_max_f32_e32 v35, v35, v35
	v_max_f32_e32 v21, v35, v21
	ds_write_b32 v80, v21
	s_and_saveexec_b64 s[6:7], s[24:25]
	s_cbranch_execz .LBB24_168
; %bb.144:                              ;   in Loop: Header=BB24_79 Depth=1
	ds_read_b32 v21, v67 offset:4
	v_max_f32_e32 v34, v34, v34
	s_waitcnt lgkmcnt(0)
	ds_write_b32 v66, v21 offset:4
	v_max_f32_e32 v21, v21, v21
	v_max_f32_e32 v21, v21, v34
	ds_write_b32 v67, v21 offset:4
	s_or_b64 exec, exec, s[6:7]
	s_and_saveexec_b64 s[6:7], s[24:25]
	s_cbranch_execnz .LBB24_169
.LBB24_145:                             ;   in Loop: Header=BB24_79 Depth=1
	s_or_b64 exec, exec, s[6:7]
	s_and_b64 exec, exec, s[24:25]
	s_cbranch_execz .LBB24_147
.LBB24_146:                             ;   in Loop: Header=BB24_79 Depth=1
	ds_read_b32 v20, v67 offset:12
	v_max_f32_e32 v19, v19, v19
	s_waitcnt lgkmcnt(0)
	ds_write_b32 v66, v20 offset:12
	v_max_f32_e32 v20, v20, v20
	v_max_f32_e32 v19, v20, v19
	ds_write_b32 v67, v19 offset:12
.LBB24_147:                             ;   in Loop: Header=BB24_79 Depth=1
	s_or_b64 exec, exec, s[4:5]
	s_waitcnt lgkmcnt(2)
	v_mov_b32_e32 v20, 0
	v_mov_b32_e32 v21, 0
	s_waitcnt lgkmcnt(0)
	s_barrier
	s_and_saveexec_b64 s[4:5], s[26:27]
	s_cbranch_execz .LBB24_149
; %bb.148:                              ;   in Loop: Header=BB24_79 Depth=1
	ds_read_b32 v19, v80
	s_waitcnt lgkmcnt(0)
	v_sub_f32_e32 v21, v32, v19
	v_mul_f32_e32 v21, 0x3fb8aa3b, v21
	v_exp_f32_e32 v21, v21
	v_cmp_lg_f32_e32 vcc, s75, v19
	s_and_b64 vcc, s[30:31], vcc
	v_cndmask_b32_e32 v21, 0, v21, vcc
.LBB24_149:                             ;   in Loop: Header=BB24_79 Depth=1
	s_or_b64 exec, exec, s[4:5]
	ds_bpermute_b32 v19, v61, v21
	s_waitcnt lgkmcnt(0)
	v_add_f32_e32 v19, v21, v19
	ds_bpermute_b32 v32, v62, v19
	s_waitcnt lgkmcnt(0)
	v_add_f32_e32 v19, v19, v32
	;; [unrolled: 3-line block ×4, first 2 shown]
	ds_bpermute_b32 v35, v47, v19
	s_and_saveexec_b64 s[4:5], s[26:27]
	s_cbranch_execz .LBB24_151
; %bb.150:                              ;   in Loop: Header=BB24_79 Depth=1
	ds_read_b32 v19, v80 offset:4
	s_waitcnt lgkmcnt(0)
	v_sub_f32_e32 v18, v18, v19
	v_mul_f32_e32 v18, 0x3fb8aa3b, v18
	v_exp_f32_e32 v18, v18
	v_cmp_lg_f32_e32 vcc, s75, v19
	s_and_b64 vcc, s[12:13], vcc
	v_cndmask_b32_e32 v20, 0, v18, vcc
.LBB24_151:                             ;   in Loop: Header=BB24_79 Depth=1
	s_or_b64 exec, exec, s[4:5]
	ds_bpermute_b32 v18, v61, v20
	s_waitcnt lgkmcnt(0)
	v_add_f32_e32 v18, v20, v18
	ds_bpermute_b32 v19, v62, v18
	s_waitcnt lgkmcnt(0)
	v_add_f32_e32 v18, v18, v19
	;; [unrolled: 3-line block ×4, first 2 shown]
	ds_bpermute_b32 v34, v47, v18
	v_mov_b32_e32 v19, 0
	s_and_saveexec_b64 s[4:5], s[26:27]
	s_cbranch_execz .LBB24_153
; %bb.152:                              ;   in Loop: Header=BB24_79 Depth=1
	ds_read_b32 v18, v80 offset:8
	s_waitcnt lgkmcnt(0)
	v_sub_f32_e32 v19, v33, v18
	v_mul_f32_e32 v19, 0x3fb8aa3b, v19
	v_exp_f32_e32 v19, v19
	v_cmp_lg_f32_e32 vcc, s75, v18
	s_and_b64 vcc, s[16:17], vcc
	v_cndmask_b32_e32 v19, 0, v19, vcc
.LBB24_153:                             ;   in Loop: Header=BB24_79 Depth=1
	s_or_b64 exec, exec, s[4:5]
	ds_bpermute_b32 v18, v61, v19
	v_mov_b32_e32 v33, 0xff800000
	s_waitcnt lgkmcnt(0)
	v_add_f32_e32 v18, v19, v18
	ds_bpermute_b32 v32, v62, v18
	s_waitcnt lgkmcnt(0)
	v_add_f32_e32 v18, v18, v32
	ds_bpermute_b32 v32, v63, v18
	;; [unrolled: 3-line block ×4, first 2 shown]
	s_and_saveexec_b64 s[4:5], s[24:25]
	s_cbranch_execz .LBB24_155
; %bb.154:                              ;   in Loop: Header=BB24_79 Depth=1
	ds_read_b32 v33, v68
.LBB24_155:                             ;   in Loop: Header=BB24_79 Depth=1
	s_or_b64 exec, exec, s[4:5]
	v_mov_b32_e32 v18, 0
	s_and_saveexec_b64 s[4:5], s[26:27]
	s_cbranch_execz .LBB24_157
; %bb.156:                              ;   in Loop: Header=BB24_79 Depth=1
	s_waitcnt lgkmcnt(0)
	v_sub_f32_e32 v18, v30, v33
	v_mul_f32_e32 v18, 0x3fb8aa3b, v18
	v_exp_f32_e32 v18, v18
	v_cmp_lg_f32_e32 vcc, s75, v33
	s_and_b64 vcc, s[20:21], vcc
	v_cndmask_b32_e32 v18, 0, v18, vcc
.LBB24_157:                             ;   in Loop: Header=BB24_79 Depth=1
	s_or_b64 exec, exec, s[4:5]
	ds_bpermute_b32 v30, v61, v18
	s_waitcnt lgkmcnt(0)
	v_add_f32_e32 v30, v18, v30
	ds_bpermute_b32 v33, v62, v30
	s_waitcnt lgkmcnt(0)
	v_add_f32_e32 v30, v30, v33
	;; [unrolled: 3-line block ×4, first 2 shown]
	ds_bpermute_b32 v30, v47, v30
	s_and_saveexec_b64 s[6:7], s[28:29]
	s_cbranch_execz .LBB24_186
; %bb.158:                              ;   in Loop: Header=BB24_79 Depth=1
	s_and_saveexec_b64 s[4:5], s[10:11]
	s_xor_b64 s[4:5], exec, s[4:5]
	s_cbranch_execz .LBB24_170
; %bb.159:                              ;   in Loop: Header=BB24_79 Depth=1
	ds_write_b32 v82, v31
	ds_write_b32 v81, v31
                                        ; implicit-def: $vgpr35
	s_andn2_saveexec_b64 s[26:27], s[4:5]
	s_cbranch_execnz .LBB24_171
.LBB24_160:                             ;   in Loop: Header=BB24_79 Depth=1
	s_or_b64 exec, exec, s[26:27]
	s_and_saveexec_b64 s[4:5], s[14:15]
	s_xor_b64 s[4:5], exec, s[4:5]
	s_cbranch_execz .LBB24_174
.LBB24_161:                             ;   in Loop: Header=BB24_79 Depth=1
	ds_write_b32 v82, v31 offset:4
	ds_write_b32 v81, v31 offset:4
                                        ; implicit-def: $vgpr34
	s_andn2_saveexec_b64 s[26:27], s[4:5]
	s_cbranch_execnz .LBB24_175
.LBB24_162:                             ;   in Loop: Header=BB24_79 Depth=1
	s_or_b64 exec, exec, s[26:27]
	s_and_saveexec_b64 s[4:5], s[18:19]
	s_xor_b64 s[4:5], exec, s[4:5]
	s_cbranch_execz .LBB24_178
.LBB24_163:                             ;   in Loop: Header=BB24_79 Depth=1
	ds_write_b32 v82, v31 offset:8
	ds_write_b32 v81, v31 offset:8
                                        ; implicit-def: $vgpr32
	s_andn2_saveexec_b64 s[26:27], s[4:5]
	s_cbranch_execnz .LBB24_179
.LBB24_164:                             ;   in Loop: Header=BB24_79 Depth=1
	s_or_b64 exec, exec, s[26:27]
	s_and_saveexec_b64 s[4:5], s[22:23]
	s_xor_b64 s[4:5], exec, s[4:5]
	s_cbranch_execz .LBB24_182
.LBB24_165:                             ;   in Loop: Header=BB24_79 Depth=1
	s_and_saveexec_b64 s[26:27], s[24:25]
	s_cbranch_execz .LBB24_167
; %bb.166:                              ;   in Loop: Header=BB24_79 Depth=1
	ds_write_b32 v70, v31
	ds_write_b32 v69, v31
.LBB24_167:                             ;   in Loop: Header=BB24_79 Depth=1
	s_or_b64 exec, exec, s[26:27]
                                        ; implicit-def: $vgpr30
	s_andn2_saveexec_b64 s[4:5], s[4:5]
	s_cbranch_execz .LBB24_186
	s_branch .LBB24_183
.LBB24_168:                             ;   in Loop: Header=BB24_79 Depth=1
	s_or_b64 exec, exec, s[6:7]
	s_and_saveexec_b64 s[6:7], s[24:25]
	s_cbranch_execz .LBB24_145
.LBB24_169:                             ;   in Loop: Header=BB24_79 Depth=1
	ds_read_b32 v21, v67 offset:8
	v_max_f32_e32 v20, v20, v20
	s_waitcnt lgkmcnt(0)
	ds_write_b32 v66, v21 offset:8
	v_max_f32_e32 v21, v21, v21
	v_max_f32_e32 v20, v21, v20
	ds_write_b32 v67, v20 offset:8
	s_or_b64 exec, exec, s[6:7]
	s_and_b64 exec, exec, s[24:25]
	s_cbranch_execnz .LBB24_146
	s_branch .LBB24_147
.LBB24_170:                             ;   in Loop: Header=BB24_79 Depth=1
	s_andn2_saveexec_b64 s[26:27], s[4:5]
	s_cbranch_execz .LBB24_160
.LBB24_171:                             ;   in Loop: Header=BB24_79 Depth=1
	ds_read_b32 v37, v65
	ds_read_b32 v33, v83
	v_mov_b32_e32 v36, 0
	s_waitcnt lgkmcnt(1)
	v_cmp_neq_f32_e32 vcc, s75, v37
	s_and_saveexec_b64 s[4:5], vcc
	s_cbranch_execz .LBB24_173
; %bb.172:                              ;   in Loop: Header=BB24_79 Depth=1
	ds_read_b32 v36, v80
	s_waitcnt lgkmcnt(0)
	v_sub_f32_e32 v36, v37, v36
	v_mul_f32_e32 v36, 0x3fb8aa3b, v36
	v_exp_f32_e32 v36, v36
.LBB24_173:                             ;   in Loop: Header=BB24_79 Depth=1
	s_or_b64 exec, exec, s[4:5]
	s_waitcnt lgkmcnt(0)
	v_mul_f32_e32 v37, v33, v36
	v_fmac_f32_e32 v35, v33, v36
	v_div_scale_f32 v33, s[4:5], v35, v35, v37
	v_rcp_f32_e32 v36, v33
	v_fma_f32 v85, -v33, v36, 1.0
	v_fmac_f32_e32 v36, v85, v36
	v_div_scale_f32 v85, vcc, v37, v35, v37
	v_mul_f32_e32 v86, v85, v36
	v_fma_f32 v87, -v33, v86, v85
	v_fmac_f32_e32 v86, v87, v36
	v_fma_f32 v33, -v33, v86, v85
	v_div_fmas_f32 v33, v33, v36, v86
	v_div_scale_f32 v36, s[4:5], v35, v35, 1.0
	v_rcp_f32_e32 v85, v36
	v_div_fixup_f32 v33, v33, v35, v37
	v_cmp_lt_f32_e64 s[4:5], 0, v35
	v_cndmask_b32_e64 v33, 0, v33, s[4:5]
	v_fma_f32 v37, -v36, v85, 1.0
	v_fmac_f32_e32 v85, v37, v85
	v_div_scale_f32 v37, vcc, 1.0, v35, 1.0
	v_mul_f32_e32 v86, v37, v85
	v_fma_f32 v87, -v36, v86, v37
	v_fmac_f32_e32 v86, v87, v85
	v_fma_f32 v36, -v36, v86, v37
	v_div_fmas_f32 v36, v36, v85, v86
	v_div_fixup_f32 v36, v36, v35, 1.0
	v_cndmask_b32_e64 v36, 0, v36, s[4:5]
	ds_write_b32 v82, v33
	ds_write_b32 v81, v36
	;; [unrolled: 1-line block ×3, first 2 shown]
	s_or_b64 exec, exec, s[26:27]
	s_and_saveexec_b64 s[4:5], s[14:15]
	s_xor_b64 s[4:5], exec, s[4:5]
	s_cbranch_execnz .LBB24_161
.LBB24_174:                             ;   in Loop: Header=BB24_79 Depth=1
	s_andn2_saveexec_b64 s[26:27], s[4:5]
	s_cbranch_execz .LBB24_162
.LBB24_175:                             ;   in Loop: Header=BB24_79 Depth=1
	ds_read_b32 v36, v65 offset:4
	ds_read_b32 v33, v83 offset:4
	v_mov_b32_e32 v35, 0
	s_waitcnt lgkmcnt(1)
	v_cmp_neq_f32_e32 vcc, s75, v36
	s_and_saveexec_b64 s[4:5], vcc
	s_cbranch_execz .LBB24_177
; %bb.176:                              ;   in Loop: Header=BB24_79 Depth=1
	ds_read_b32 v35, v80 offset:4
	s_waitcnt lgkmcnt(0)
	v_sub_f32_e32 v35, v36, v35
	v_mul_f32_e32 v35, 0x3fb8aa3b, v35
	v_exp_f32_e32 v35, v35
.LBB24_177:                             ;   in Loop: Header=BB24_79 Depth=1
	s_or_b64 exec, exec, s[4:5]
	s_waitcnt lgkmcnt(0)
	v_mul_f32_e32 v36, v33, v35
	v_fmac_f32_e32 v34, v33, v35
	v_div_scale_f32 v33, s[4:5], v34, v34, v36
	v_rcp_f32_e32 v35, v33
	v_fma_f32 v37, -v33, v35, 1.0
	v_fmac_f32_e32 v35, v37, v35
	v_div_scale_f32 v37, vcc, v36, v34, v36
	v_mul_f32_e32 v85, v37, v35
	v_fma_f32 v86, -v33, v85, v37
	v_fmac_f32_e32 v85, v86, v35
	v_fma_f32 v33, -v33, v85, v37
	v_div_fmas_f32 v33, v33, v35, v85
	v_div_scale_f32 v35, s[4:5], v34, v34, 1.0
	v_rcp_f32_e32 v37, v35
	v_div_fixup_f32 v33, v33, v34, v36
	v_cmp_lt_f32_e64 s[4:5], 0, v34
	v_cndmask_b32_e64 v33, 0, v33, s[4:5]
	v_fma_f32 v36, -v35, v37, 1.0
	v_fmac_f32_e32 v37, v36, v37
	v_div_scale_f32 v36, vcc, 1.0, v34, 1.0
	v_mul_f32_e32 v85, v36, v37
	v_fma_f32 v86, -v35, v85, v36
	v_fmac_f32_e32 v85, v86, v37
	v_fma_f32 v35, -v35, v85, v36
	v_div_fmas_f32 v35, v35, v37, v85
	v_div_fixup_f32 v35, v35, v34, 1.0
	v_cndmask_b32_e64 v35, 0, v35, s[4:5]
	ds_write_b32 v82, v33 offset:4
	ds_write_b32 v81, v35 offset:4
	;; [unrolled: 1-line block ×3, first 2 shown]
	s_or_b64 exec, exec, s[26:27]
	s_and_saveexec_b64 s[4:5], s[18:19]
	s_xor_b64 s[4:5], exec, s[4:5]
	s_cbranch_execnz .LBB24_163
.LBB24_178:                             ;   in Loop: Header=BB24_79 Depth=1
	s_andn2_saveexec_b64 s[26:27], s[4:5]
	s_cbranch_execz .LBB24_164
.LBB24_179:                             ;   in Loop: Header=BB24_79 Depth=1
	ds_read_b32 v35, v65 offset:8
	ds_read_b32 v33, v83 offset:8
	v_mov_b32_e32 v34, 0
	s_waitcnt lgkmcnt(1)
	v_cmp_neq_f32_e32 vcc, s75, v35
	s_and_saveexec_b64 s[4:5], vcc
	s_cbranch_execz .LBB24_181
; %bb.180:                              ;   in Loop: Header=BB24_79 Depth=1
	ds_read_b32 v34, v80 offset:8
	s_waitcnt lgkmcnt(0)
	v_sub_f32_e32 v34, v35, v34
	v_mul_f32_e32 v34, 0x3fb8aa3b, v34
	v_exp_f32_e32 v34, v34
.LBB24_181:                             ;   in Loop: Header=BB24_79 Depth=1
	s_or_b64 exec, exec, s[4:5]
	s_waitcnt lgkmcnt(0)
	v_mul_f32_e32 v35, v33, v34
	v_fmac_f32_e32 v32, v33, v34
	v_div_scale_f32 v33, s[4:5], v32, v32, v35
	v_rcp_f32_e32 v34, v33
	v_fma_f32 v36, -v33, v34, 1.0
	v_fmac_f32_e32 v34, v36, v34
	v_div_scale_f32 v36, vcc, v35, v32, v35
	v_mul_f32_e32 v37, v36, v34
	v_fma_f32 v85, -v33, v37, v36
	v_fmac_f32_e32 v37, v85, v34
	v_fma_f32 v33, -v33, v37, v36
	v_div_fmas_f32 v33, v33, v34, v37
	v_div_scale_f32 v34, s[4:5], v32, v32, 1.0
	v_rcp_f32_e32 v36, v34
	v_div_fixup_f32 v33, v33, v32, v35
	v_cmp_lt_f32_e64 s[4:5], 0, v32
	v_cndmask_b32_e64 v33, 0, v33, s[4:5]
	v_fma_f32 v35, -v34, v36, 1.0
	v_fmac_f32_e32 v36, v35, v36
	v_div_scale_f32 v35, vcc, 1.0, v32, 1.0
	v_mul_f32_e32 v37, v35, v36
	v_fma_f32 v85, -v34, v37, v35
	v_fmac_f32_e32 v37, v85, v36
	v_fma_f32 v34, -v34, v37, v35
	v_div_fmas_f32 v34, v34, v36, v37
	v_div_fixup_f32 v34, v34, v32, 1.0
	v_cndmask_b32_e64 v34, 0, v34, s[4:5]
	ds_write_b32 v82, v33 offset:8
	ds_write_b32 v81, v34 offset:8
	;; [unrolled: 1-line block ×3, first 2 shown]
	s_or_b64 exec, exec, s[26:27]
	s_and_saveexec_b64 s[4:5], s[22:23]
	s_xor_b64 s[4:5], exec, s[4:5]
	s_cbranch_execnz .LBB24_165
.LBB24_182:                             ;   in Loop: Header=BB24_79 Depth=1
	s_andn2_saveexec_b64 s[4:5], s[4:5]
	s_cbranch_execz .LBB24_186
.LBB24_183:                             ;   in Loop: Header=BB24_79 Depth=1
	ds_read_b32 v34, v71
	ds_read_b32 v32, v72
	v_mov_b32_e32 v33, 0
	s_waitcnt lgkmcnt(1)
	v_cmp_neq_f32_e32 vcc, s75, v34
	s_and_saveexec_b64 s[4:5], vcc
	s_cbranch_execz .LBB24_185
; %bb.184:                              ;   in Loop: Header=BB24_79 Depth=1
	ds_read_b32 v33, v68
	s_waitcnt lgkmcnt(0)
	v_sub_f32_e32 v33, v34, v33
	v_mul_f32_e32 v33, 0x3fb8aa3b, v33
	v_exp_f32_e32 v33, v33
.LBB24_185:                             ;   in Loop: Header=BB24_79 Depth=1
	s_or_b64 exec, exec, s[4:5]
	s_waitcnt lgkmcnt(0)
	v_mul_f32_e32 v34, v32, v33
	v_fmac_f32_e32 v30, v32, v33
	v_div_scale_f32 v32, s[4:5], v30, v30, v34
	v_rcp_f32_e32 v33, v32
	v_fma_f32 v35, -v32, v33, 1.0
	v_fmac_f32_e32 v33, v35, v33
	v_div_scale_f32 v35, vcc, v34, v30, v34
	v_mul_f32_e32 v36, v35, v33
	v_fma_f32 v37, -v32, v36, v35
	v_fmac_f32_e32 v36, v37, v33
	v_fma_f32 v32, -v32, v36, v35
	v_div_fmas_f32 v32, v32, v33, v36
	v_div_scale_f32 v33, s[4:5], v30, v30, 1.0
	v_rcp_f32_e32 v35, v33
	v_div_fixup_f32 v32, v32, v30, v34
	v_cmp_lt_f32_e64 s[4:5], 0, v30
	v_cndmask_b32_e64 v32, 0, v32, s[4:5]
	v_fma_f32 v34, -v33, v35, 1.0
	v_fmac_f32_e32 v35, v34, v35
	v_div_scale_f32 v34, vcc, 1.0, v30, 1.0
	v_mul_f32_e32 v36, v34, v35
	v_fma_f32 v37, -v33, v36, v34
	v_fmac_f32_e32 v36, v37, v35
	v_fma_f32 v33, -v33, v36, v34
	v_div_fmas_f32 v33, v33, v35, v36
	v_div_fixup_f32 v33, v33, v30, 1.0
	v_cndmask_b32_e64 v33, 0, v33, s[4:5]
	ds_write_b32 v70, v32
	ds_write_b32 v69, v33
	;; [unrolled: 1-line block ×3, first 2 shown]
.LBB24_186:                             ;   in Loop: Header=BB24_79 Depth=1
	s_or_b64 exec, exec, s[6:7]
	s_waitcnt lgkmcnt(0)
	v_mov_b32_e32 v30, 0
	v_mov_b32_e32 v85, 0
	s_barrier
	s_and_saveexec_b64 s[4:5], s[30:31]
	s_cbranch_execz .LBB24_188
; %bb.187:                              ;   in Loop: Header=BB24_79 Depth=1
	ds_read_b32 v85, v82
.LBB24_188:                             ;   in Loop: Header=BB24_79 Depth=1
	s_or_b64 exec, exec, s[4:5]
	s_or_b64 s[4:5], s[40:41], s[10:11]
	s_xor_b64 s[6:7], s[4:5], -1
	s_and_saveexec_b64 s[4:5], s[6:7]
	s_cbranch_execz .LBB24_190
; %bb.189:                              ;   in Loop: Header=BB24_79 Depth=1
	ds_read_b32 v30, v81
	s_waitcnt lgkmcnt(0)
	v_mul_f32_e32 v30, v21, v30
.LBB24_190:                             ;   in Loop: Header=BB24_79 Depth=1
	s_or_b64 exec, exec, s[4:5]
	v_and_b32_e32 v21, 0x7f800000, v30
	v_cmp_ne_u32_e32 vcc, s70, v21
                                        ; implicit-def: $vgpr21
	s_and_saveexec_b64 s[4:5], vcc
	s_xor_b64 s[4:5], exec, s[4:5]
; %bb.191:                              ;   in Loop: Header=BB24_79 Depth=1
	v_bfe_u32 v21, v30, 16, 1
	v_add3_u32 v21, v30, v21, s71
                                        ; implicit-def: $vgpr30
; %bb.192:                              ;   in Loop: Header=BB24_79 Depth=1
	s_andn2_saveexec_b64 s[4:5], s[4:5]
; %bb.193:                              ;   in Loop: Header=BB24_79 Depth=1
	v_or_b32_e32 v21, 0x10000, v30
	v_cmp_eq_u32_sdwa vcc, v30, v79 src0_sel:WORD_0 src1_sel:DWORD
	v_cndmask_b32_e32 v21, v21, v30, vcc
; %bb.194:                              ;   in Loop: Header=BB24_79 Depth=1
	s_or_b64 exec, exec, s[4:5]
	ds_write_b16_d16_hi v73, v21
	v_mov_b32_e32 v21, 0
	v_mov_b32_e32 v86, 0
	s_and_saveexec_b64 s[4:5], s[12:13]
	s_cbranch_execz .LBB24_196
; %bb.195:                              ;   in Loop: Header=BB24_79 Depth=1
	ds_read_b32 v86, v82 offset:4
.LBB24_196:                             ;   in Loop: Header=BB24_79 Depth=1
	s_or_b64 exec, exec, s[4:5]
	s_or_b64 s[4:5], s[40:41], s[14:15]
	s_xor_b64 s[6:7], s[4:5], -1
	s_and_saveexec_b64 s[4:5], s[6:7]
	s_cbranch_execz .LBB24_198
; %bb.197:                              ;   in Loop: Header=BB24_79 Depth=1
	ds_read_b32 v21, v81 offset:4
	s_waitcnt lgkmcnt(0)
	v_mul_f32_e32 v21, v20, v21
.LBB24_198:                             ;   in Loop: Header=BB24_79 Depth=1
	s_or_b64 exec, exec, s[4:5]
	v_and_b32_e32 v20, 0x7f800000, v21
	v_cmp_ne_u32_e32 vcc, s70, v20
                                        ; implicit-def: $vgpr20
	s_and_saveexec_b64 s[4:5], vcc
	s_xor_b64 s[4:5], exec, s[4:5]
; %bb.199:                              ;   in Loop: Header=BB24_79 Depth=1
	v_bfe_u32 v20, v21, 16, 1
	v_add3_u32 v20, v21, v20, s71
                                        ; implicit-def: $vgpr21
; %bb.200:                              ;   in Loop: Header=BB24_79 Depth=1
	s_andn2_saveexec_b64 s[4:5], s[4:5]
; %bb.201:                              ;   in Loop: Header=BB24_79 Depth=1
	v_or_b32_e32 v20, 0x10000, v21
	v_cmp_eq_u32_sdwa vcc, v21, v79 src0_sel:WORD_0 src1_sel:DWORD
	v_cndmask_b32_e32 v20, v20, v21, vcc
; %bb.202:                              ;   in Loop: Header=BB24_79 Depth=1
	s_or_b64 exec, exec, s[4:5]
	ds_write_b16_d16_hi v73, v20 offset:32
	v_mov_b32_e32 v20, 0
	v_mov_b32_e32 v87, 0
	s_and_saveexec_b64 s[4:5], s[16:17]
	s_cbranch_execz .LBB24_204
; %bb.203:                              ;   in Loop: Header=BB24_79 Depth=1
	ds_read_b32 v87, v82 offset:8
.LBB24_204:                             ;   in Loop: Header=BB24_79 Depth=1
	s_or_b64 exec, exec, s[4:5]
	s_or_b64 s[4:5], s[40:41], s[18:19]
	s_xor_b64 s[6:7], s[4:5], -1
	s_and_saveexec_b64 s[4:5], s[6:7]
	s_cbranch_execz .LBB24_206
; %bb.205:                              ;   in Loop: Header=BB24_79 Depth=1
	ds_read_b32 v20, v81 offset:8
	s_waitcnt lgkmcnt(0)
	v_mul_f32_e32 v20, v19, v20
.LBB24_206:                             ;   in Loop: Header=BB24_79 Depth=1
	s_or_b64 exec, exec, s[4:5]
	v_and_b32_e32 v19, 0x7f800000, v20
	v_cmp_ne_u32_e32 vcc, s70, v19
                                        ; implicit-def: $vgpr19
	s_and_saveexec_b64 s[4:5], vcc
	s_xor_b64 s[4:5], exec, s[4:5]
; %bb.207:                              ;   in Loop: Header=BB24_79 Depth=1
	v_bfe_u32 v19, v20, 16, 1
	v_add3_u32 v19, v20, v19, s71
                                        ; implicit-def: $vgpr20
; %bb.208:                              ;   in Loop: Header=BB24_79 Depth=1
	s_andn2_saveexec_b64 s[4:5], s[4:5]
; %bb.209:                              ;   in Loop: Header=BB24_79 Depth=1
	v_or_b32_e32 v19, 0x10000, v20
	v_cmp_eq_u32_sdwa vcc, v20, v79 src0_sel:WORD_0 src1_sel:DWORD
	v_cndmask_b32_e32 v19, v19, v20, vcc
; %bb.210:                              ;   in Loop: Header=BB24_79 Depth=1
	s_or_b64 exec, exec, s[4:5]
	ds_write_b16_d16_hi v73, v19 offset:64
	v_mov_b32_e32 v19, 0
	v_mov_b32_e32 v88, 0
	s_and_saveexec_b64 s[4:5], s[20:21]
	s_cbranch_execz .LBB24_212
; %bb.211:                              ;   in Loop: Header=BB24_79 Depth=1
	ds_read_b32 v88, v70
.LBB24_212:                             ;   in Loop: Header=BB24_79 Depth=1
	s_or_b64 exec, exec, s[4:5]
	s_or_b64 s[4:5], s[40:41], s[22:23]
	s_xor_b64 s[6:7], s[4:5], -1
	s_and_saveexec_b64 s[4:5], s[6:7]
	s_cbranch_execz .LBB24_214
; %bb.213:                              ;   in Loop: Header=BB24_79 Depth=1
	ds_read_b32 v19, v69
	s_waitcnt lgkmcnt(0)
	v_mul_f32_e32 v19, v18, v19
.LBB24_214:                             ;   in Loop: Header=BB24_79 Depth=1
	s_or_b64 exec, exec, s[4:5]
	s_and_saveexec_b64 s[4:5], s[24:25]
	s_cbranch_execz .LBB24_220
; %bb.215:                              ;   in Loop: Header=BB24_79 Depth=1
	v_and_b32_e32 v18, 0x7f800000, v19
	v_cmp_ne_u32_e32 vcc, s70, v18
                                        ; implicit-def: $vgpr18
	s_and_saveexec_b64 s[6:7], vcc
	s_xor_b64 s[6:7], exec, s[6:7]
; %bb.216:                              ;   in Loop: Header=BB24_79 Depth=1
	v_bfe_u32 v18, v19, 16, 1
	v_add3_u32 v18, v19, v18, s71
                                        ; implicit-def: $vgpr19
; %bb.217:                              ;   in Loop: Header=BB24_79 Depth=1
	s_andn2_saveexec_b64 s[6:7], s[6:7]
; %bb.218:                              ;   in Loop: Header=BB24_79 Depth=1
	v_or_b32_e32 v18, 0x10000, v19
	v_cmp_eq_u32_sdwa vcc, v19, v79 src0_sel:WORD_0 src1_sel:DWORD
	v_cndmask_b32_e32 v18, v18, v19, vcc
; %bb.219:                              ;   in Loop: Header=BB24_79 Depth=1
	s_or_b64 exec, exec, s[6:7]
	ds_write_b16_d16_hi v74, v18
.LBB24_220:                             ;   in Loop: Header=BB24_79 Depth=1
	s_or_b64 exec, exec, s[4:5]
	s_mov_b32 s45, s44
	v_pk_mov_b32 v[18:19], s[44:45], s[44:45] op_sel:[0,1]
	s_waitcnt lgkmcnt(0)
	s_barrier
	s_and_saveexec_b64 s[4:5], s[2:3]
	s_cbranch_execz .LBB24_230
; %bb.221:                              ;   in Loop: Header=BB24_79 Depth=1
	v_cmp_gt_i32_e32 vcc, s79, v39
	v_pk_mov_b32 v[18:19], s[44:45], s[44:45] op_sel:[0,1]
	s_and_saveexec_b64 s[6:7], vcc
	s_cbranch_execz .LBB24_225
; %bb.222:                              ;   in Loop: Header=BB24_79 Depth=1
	ds_read_u16 v18, v75
	s_waitcnt lgkmcnt(0)
	v_and_b32_e32 v30, 0xffff, v18
	v_pk_mov_b32 v[18:19], v[30:31], v[30:31] op_sel:[0,1]
	s_or_b64 exec, exec, s[6:7]
	v_cmp_gt_i32_e32 vcc, s80, v44
	s_and_saveexec_b64 s[6:7], vcc
	s_cbranch_execnz .LBB24_226
.LBB24_223:                             ;   in Loop: Header=BB24_79 Depth=1
	s_or_b64 exec, exec, s[6:7]
	v_cmp_gt_i32_e32 vcc, s80, v43
	s_and_saveexec_b64 s[6:7], vcc
	s_cbranch_execz .LBB24_227
.LBB24_224:                             ;   in Loop: Header=BB24_79 Depth=1
	ds_read_u16 v20, v75 offset:4
	s_waitcnt lgkmcnt(0)
	v_bfi_b32 v19, s72, v20, v19
	s_or_b64 exec, exec, s[6:7]
	v_cmp_gt_i32_e32 vcc, s80, v42
	s_and_saveexec_b64 s[6:7], vcc
	s_cbranch_execnz .LBB24_228
	s_branch .LBB24_229
.LBB24_225:                             ;   in Loop: Header=BB24_79 Depth=1
	s_or_b64 exec, exec, s[6:7]
	v_cmp_gt_i32_e32 vcc, s80, v44
	s_and_saveexec_b64 s[6:7], vcc
	s_cbranch_execz .LBB24_223
.LBB24_226:                             ;   in Loop: Header=BB24_79 Depth=1
	ds_read_u16 v20, v75 offset:2
	s_waitcnt lgkmcnt(0)
	v_perm_b32 v18, v20, v18, s74
	s_or_b64 exec, exec, s[6:7]
	v_cmp_gt_i32_e32 vcc, s80, v43
	s_and_saveexec_b64 s[6:7], vcc
	s_cbranch_execnz .LBB24_224
.LBB24_227:                             ;   in Loop: Header=BB24_79 Depth=1
	s_or_b64 exec, exec, s[6:7]
	v_cmp_gt_i32_e32 vcc, s80, v42
	s_and_saveexec_b64 s[6:7], vcc
	s_cbranch_execz .LBB24_229
.LBB24_228:                             ;   in Loop: Header=BB24_79 Depth=1
	ds_read_u16 v20, v76
	s_waitcnt lgkmcnt(0)
	v_perm_b32 v19, v20, v19, s74
.LBB24_229:                             ;   in Loop: Header=BB24_79 Depth=1
	s_or_b64 exec, exec, s[6:7]
.LBB24_230:                             ;   in Loop: Header=BB24_79 Depth=1
	s_or_b64 exec, exec, s[4:5]
	s_mov_b32 s45, s44
	v_cmp_gt_i32_e32 vcc, s79, v39
	v_pk_mov_b32 v[20:21], s[44:45], s[44:45] op_sel:[0,1]
	s_and_saveexec_b64 s[4:5], vcc
	s_cbranch_execz .LBB24_234
; %bb.231:                              ;   in Loop: Header=BB24_79 Depth=1
	ds_read_u16 v20, v48
	s_waitcnt lgkmcnt(0)
	v_and_b32_e32 v30, 0xffff, v20
	v_pk_mov_b32 v[20:21], v[30:31], v[30:31] op_sel:[0,1]
	s_or_b64 exec, exec, s[4:5]
	v_cmp_gt_i32_e64 s[4:5], s80, v44
	s_and_saveexec_b64 s[6:7], s[4:5]
	s_cbranch_execnz .LBB24_235
.LBB24_232:                             ;   in Loop: Header=BB24_79 Depth=1
	s_or_b64 exec, exec, s[6:7]
	v_cmp_gt_i32_e64 s[6:7], s80, v43
	s_and_saveexec_b64 s[26:27], s[6:7]
	s_cbranch_execz .LBB24_236
.LBB24_233:                             ;   in Loop: Header=BB24_79 Depth=1
	ds_read_u16 v30, v48 offset:4
	s_waitcnt lgkmcnt(0)
	v_bfi_b32 v21, s72, v30, v21
	s_or_b64 exec, exec, s[26:27]
	v_cmp_gt_i32_e64 s[26:27], s80, v42
	s_and_saveexec_b64 s[34:35], s[26:27]
	s_cbranch_execnz .LBB24_237
	s_branch .LBB24_238
.LBB24_234:                             ;   in Loop: Header=BB24_79 Depth=1
	s_or_b64 exec, exec, s[4:5]
	v_cmp_gt_i32_e64 s[4:5], s80, v44
	s_and_saveexec_b64 s[6:7], s[4:5]
	s_cbranch_execz .LBB24_232
.LBB24_235:                             ;   in Loop: Header=BB24_79 Depth=1
	ds_read_u16 v30, v48 offset:2
	s_waitcnt lgkmcnt(0)
	v_perm_b32 v20, v30, v20, s74
	s_or_b64 exec, exec, s[6:7]
	v_cmp_gt_i32_e64 s[6:7], s80, v43
	s_and_saveexec_b64 s[26:27], s[6:7]
	s_cbranch_execnz .LBB24_233
.LBB24_236:                             ;   in Loop: Header=BB24_79 Depth=1
	s_or_b64 exec, exec, s[26:27]
	v_cmp_gt_i32_e64 s[26:27], s80, v42
	s_and_saveexec_b64 s[34:35], s[26:27]
	s_cbranch_execz .LBB24_238
.LBB24_237:                             ;   in Loop: Header=BB24_79 Depth=1
	ds_read_u16 v30, v49
	s_waitcnt lgkmcnt(0)
	v_perm_b32 v21, v30, v21, s74
.LBB24_238:                             ;   in Loop: Header=BB24_79 Depth=1
	s_or_b64 exec, exec, s[34:35]
	s_mov_b32 s45, s44
	v_pk_mov_b32 v[32:33], s[44:45], s[44:45] op_sel:[0,1]
	s_and_saveexec_b64 s[34:35], vcc
	s_cbranch_execz .LBB24_242
; %bb.239:                              ;   in Loop: Header=BB24_79 Depth=1
	ds_read_u16 v30, v48 offset:512
	s_waitcnt lgkmcnt(0)
	v_and_b32_e32 v30, 0xffff, v30
	v_pk_mov_b32 v[32:33], v[30:31], v[30:31] op_sel:[0,1]
	s_or_b64 exec, exec, s[34:35]
	s_and_saveexec_b64 s[34:35], s[4:5]
	s_cbranch_execnz .LBB24_243
.LBB24_240:                             ;   in Loop: Header=BB24_79 Depth=1
	s_or_b64 exec, exec, s[34:35]
	s_and_saveexec_b64 s[34:35], s[6:7]
	s_cbranch_execz .LBB24_244
.LBB24_241:                             ;   in Loop: Header=BB24_79 Depth=1
	ds_read_u16 v30, v48 offset:516
	s_waitcnt lgkmcnt(0)
	v_bfi_b32 v33, s72, v30, v33
	s_or_b64 exec, exec, s[34:35]
	s_and_saveexec_b64 s[34:35], s[26:27]
	s_cbranch_execnz .LBB24_245
	s_branch .LBB24_246
.LBB24_242:                             ;   in Loop: Header=BB24_79 Depth=1
	s_or_b64 exec, exec, s[34:35]
	s_and_saveexec_b64 s[34:35], s[4:5]
	s_cbranch_execz .LBB24_240
.LBB24_243:                             ;   in Loop: Header=BB24_79 Depth=1
	ds_read_u16 v30, v48 offset:514
	s_waitcnt lgkmcnt(0)
	v_perm_b32 v32, v30, v32, s74
	s_or_b64 exec, exec, s[34:35]
	s_and_saveexec_b64 s[34:35], s[6:7]
	s_cbranch_execnz .LBB24_241
.LBB24_244:                             ;   in Loop: Header=BB24_79 Depth=1
	s_or_b64 exec, exec, s[34:35]
	s_and_saveexec_b64 s[34:35], s[26:27]
	s_cbranch_execz .LBB24_246
.LBB24_245:                             ;   in Loop: Header=BB24_79 Depth=1
	ds_read_u16 v30, v49 offset:512
	s_waitcnt lgkmcnt(0)
	v_perm_b32 v33, v30, v33, s74
.LBB24_246:                             ;   in Loop: Header=BB24_79 Depth=1
	s_or_b64 exec, exec, s[34:35]
	s_mov_b32 s45, s44
	v_pk_mov_b32 v[34:35], s[44:45], s[44:45] op_sel:[0,1]
	s_and_saveexec_b64 s[34:35], vcc
	s_cbranch_execz .LBB24_250
; %bb.247:                              ;   in Loop: Header=BB24_79 Depth=1
	ds_read_u16 v30, v48 offset:1024
	s_waitcnt lgkmcnt(0)
	v_and_b32_e32 v30, 0xffff, v30
	v_pk_mov_b32 v[34:35], v[30:31], v[30:31] op_sel:[0,1]
	s_or_b64 exec, exec, s[34:35]
	s_and_saveexec_b64 s[34:35], s[4:5]
	s_cbranch_execnz .LBB24_251
.LBB24_248:                             ;   in Loop: Header=BB24_79 Depth=1
	s_or_b64 exec, exec, s[34:35]
	s_and_saveexec_b64 s[34:35], s[6:7]
	s_cbranch_execz .LBB24_252
.LBB24_249:                             ;   in Loop: Header=BB24_79 Depth=1
	ds_read_u16 v30, v48 offset:1028
	s_waitcnt lgkmcnt(0)
	v_bfi_b32 v35, s72, v30, v35
	s_or_b64 exec, exec, s[34:35]
	s_and_saveexec_b64 s[34:35], s[26:27]
	s_cbranch_execnz .LBB24_253
	s_branch .LBB24_254
.LBB24_250:                             ;   in Loop: Header=BB24_79 Depth=1
	s_or_b64 exec, exec, s[34:35]
	s_and_saveexec_b64 s[34:35], s[4:5]
	s_cbranch_execz .LBB24_248
.LBB24_251:                             ;   in Loop: Header=BB24_79 Depth=1
	ds_read_u16 v30, v48 offset:1026
	s_waitcnt lgkmcnt(0)
	v_perm_b32 v34, v30, v34, s74
	s_or_b64 exec, exec, s[34:35]
	s_and_saveexec_b64 s[34:35], s[6:7]
	s_cbranch_execnz .LBB24_249
.LBB24_252:                             ;   in Loop: Header=BB24_79 Depth=1
	s_or_b64 exec, exec, s[34:35]
	s_and_saveexec_b64 s[34:35], s[26:27]
	s_cbranch_execz .LBB24_254
.LBB24_253:                             ;   in Loop: Header=BB24_79 Depth=1
	ds_read_u16 v30, v49 offset:1024
	s_waitcnt lgkmcnt(0)
	v_perm_b32 v35, v30, v35, s74
.LBB24_254:                             ;   in Loop: Header=BB24_79 Depth=1
	s_or_b64 exec, exec, s[34:35]
	s_mov_b32 s45, s44
	v_pk_mov_b32 v[36:37], s[44:45], s[44:45] op_sel:[0,1]
	s_and_saveexec_b64 s[34:35], vcc
	s_cbranch_execz .LBB24_258
; %bb.255:                              ;   in Loop: Header=BB24_79 Depth=1
	ds_read_u16 v30, v50
	s_waitcnt lgkmcnt(0)
	v_and_b32_e32 v30, 0xffff, v30
	v_pk_mov_b32 v[36:37], v[30:31], v[30:31] op_sel:[0,1]
	s_or_b64 exec, exec, s[34:35]
	s_and_saveexec_b64 s[34:35], s[4:5]
	s_cbranch_execnz .LBB24_259
.LBB24_256:                             ;   in Loop: Header=BB24_79 Depth=1
	s_or_b64 exec, exec, s[34:35]
	s_and_saveexec_b64 s[4:5], s[6:7]
	s_cbranch_execz .LBB24_260
.LBB24_257:                             ;   in Loop: Header=BB24_79 Depth=1
	ds_read_u16 v30, v50 offset:4
	s_waitcnt lgkmcnt(0)
	v_bfi_b32 v37, s72, v30, v37
	s_or_b64 exec, exec, s[4:5]
	s_and_saveexec_b64 s[4:5], s[26:27]
	s_cbranch_execz .LBB24_78
	s_branch .LBB24_261
.LBB24_258:                             ;   in Loop: Header=BB24_79 Depth=1
	s_or_b64 exec, exec, s[34:35]
	s_and_saveexec_b64 s[34:35], s[4:5]
	s_cbranch_execz .LBB24_256
.LBB24_259:                             ;   in Loop: Header=BB24_79 Depth=1
	ds_read_u16 v30, v50 offset:2
	s_waitcnt lgkmcnt(0)
	v_perm_b32 v36, v30, v36, s74
	s_or_b64 exec, exec, s[34:35]
	s_and_saveexec_b64 s[4:5], s[6:7]
	s_cbranch_execnz .LBB24_257
.LBB24_260:                             ;   in Loop: Header=BB24_79 Depth=1
	s_or_b64 exec, exec, s[4:5]
	s_and_saveexec_b64 s[4:5], s[26:27]
	s_cbranch_execz .LBB24_78
.LBB24_261:                             ;   in Loop: Header=BB24_79 Depth=1
	ds_read_u16 v30, v51
	s_waitcnt lgkmcnt(0)
	v_perm_b32 v37, v30, v37, s74
	s_branch .LBB24_78
.LBB24_262:
	s_cmp_lg_u64 s[42:43], 0
	s_cbranch_scc0 .LBB24_304
; %bb.263:
	v_cmp_eq_u32_e32 vcc, 0, v38
	s_and_saveexec_b64 s[0:1], vcc
	s_cbranch_execz .LBB24_301
; %bb.264:
	v_cmp_le_u32_e32 vcc, s49, v39
	s_and_saveexec_b64 s[2:3], vcc
	s_xor_b64 s[2:3], exec, s[2:3]
	s_cbranch_execz .LBB24_266
; %bb.265:
	v_mov_b32_e32 v1, 1.0
	ds_write_b32 v41, v1 offset:4928
.LBB24_266:
	s_andn2_saveexec_b64 s[2:3], s[2:3]
	s_cbranch_execz .LBB24_272
; %bb.267:
	v_add_u32_e32 v18, s33, v39
	v_ashrrev_i32_e32 v19, 31, v18
	v_lshlrev_b64 v[18:19], 1, v[18:19]
	v_mov_b32_e32 v1, s43
	v_add_co_u32_e32 v18, vcc, s42, v18
	v_addc_co_u32_e32 v19, vcc, v1, v19, vcc
	global_load_ushort v1, v[18:19], off
	s_movk_i32 s4, 0x1f8
	s_waitcnt vmcnt(0)
	v_lshlrev_b32_e32 v1, 16, v1
	v_cmp_class_f32_e64 s[4:5], v1, s4
	s_and_saveexec_b64 s[6:7], s[4:5]
	s_xor_b64 s[4:5], exec, s[6:7]
	s_cbranch_execz .LBB24_269
; %bb.268:
	v_add_u32_e32 v20, 0x1000, v41
	ds_read2_b32 v[18:19], v20 offset0:144 offset1:160
	v_max_f32_e32 v21, v1, v1
	s_mov_b32 s6, 0xff800000
	s_waitcnt lgkmcnt(0)
	v_max_f32_e32 v22, v19, v19
	v_max_f32_e32 v21, v22, v21
	v_sub_f32_e32 v22, v19, v21
	v_sub_f32_e32 v1, v1, v21
	v_mul_f32_e32 v22, 0x3fb8aa3b, v22
	v_exp_f32_e32 v22, v22
	v_mul_f32_e32 v1, 0x3fb8aa3b, v1
	v_exp_f32_e32 v1, v1
	v_cmp_neq_f32_e32 vcc, s6, v19
	v_cndmask_b32_e32 v19, 0, v22, vcc
	v_mul_f32_e32 v22, v18, v19
	v_fmac_f32_e32 v1, v18, v19
	v_div_scale_f32 v18, s[6:7], v1, v1, v22
	v_rcp_f32_e32 v19, v18
	v_div_scale_f32 v23, vcc, v22, v1, v22
	v_fma_f32 v24, -v18, v19, 1.0
	v_fmac_f32_e32 v19, v24, v19
	v_mul_f32_e32 v24, v23, v19
	v_fma_f32 v25, -v18, v24, v23
	v_fmac_f32_e32 v24, v25, v19
	v_fma_f32 v18, -v18, v24, v23
	v_div_fmas_f32 v18, v18, v19, v24
	v_div_fixup_f32 v18, v18, v1, v22
	v_cmp_lt_f32_e32 vcc, 0, v1
	v_cndmask_b32_e32 v18, 1.0, v18, vcc
	ds_write_b32 v41, v18 offset:4928
	ds_write2_b32 v20, v1, v21 offset0:144 offset1:160
.LBB24_269:
	s_andn2_saveexec_b64 s[4:5], s[4:5]
	s_cbranch_execz .LBB24_271
; %bb.270:
	v_mov_b32_e32 v1, 1.0
	ds_write_b32 v41, v1 offset:4928
.LBB24_271:
	s_or_b64 exec, exec, s[4:5]
.LBB24_272:
	s_or_b64 exec, exec, s[2:3]
	v_or_b32_e32 v1, 1, v40
	v_cmp_le_u32_e32 vcc, s60, v1
	s_and_saveexec_b64 s[2:3], vcc
	s_xor_b64 s[2:3], exec, s[2:3]
	s_cbranch_execz .LBB24_276
; %bb.273:
	v_cmp_gt_u32_e32 vcc, 64, v0
	s_and_saveexec_b64 s[4:5], vcc
	s_cbranch_execz .LBB24_275
; %bb.274:
	v_lshlrev_b32_e32 v1, 2, v40
	v_mov_b32_e32 v18, 1.0
	ds_write_b32 v1, v18 offset:4932
.LBB24_275:
	s_or_b64 exec, exec, s[4:5]
.LBB24_276:
	s_andn2_saveexec_b64 s[2:3], s[2:3]
	s_cbranch_execz .LBB24_282
; %bb.277:
	s_ashr_i32 s4, s33, 31
	v_mov_b32_e32 v1, s4
	v_add_co_u32_e32 v18, vcc, s33, v40
	v_addc_co_u32_e32 v19, vcc, 0, v1, vcc
	v_lshlrev_b64 v[18:19], 1, v[18:19]
	v_mov_b32_e32 v1, s43
	v_add_co_u32_e32 v18, vcc, s42, v18
	v_addc_co_u32_e32 v19, vcc, v1, v19, vcc
	global_load_ushort v1, v[18:19], off offset:2
	s_movk_i32 s4, 0x1f8
	s_waitcnt vmcnt(0)
	v_lshlrev_b32_e32 v1, 16, v1
	v_cmp_class_f32_e64 s[4:5], v1, s4
	s_and_saveexec_b64 s[6:7], s[4:5]
	s_xor_b64 s[4:5], exec, s[6:7]
	s_cbranch_execz .LBB24_279
; %bb.278:
	v_lshlrev_b32_e32 v20, 2, v40
	v_add_u32_e32 v21, 0x1000, v20
	ds_read2_b32 v[18:19], v21 offset0:145 offset1:161
	v_max_f32_e32 v22, v1, v1
	s_mov_b32 s6, 0xff800000
	s_waitcnt lgkmcnt(0)
	v_max_f32_e32 v23, v19, v19
	v_max_f32_e32 v22, v23, v22
	v_sub_f32_e32 v23, v19, v22
	v_sub_f32_e32 v1, v1, v22
	v_mul_f32_e32 v23, 0x3fb8aa3b, v23
	v_exp_f32_e32 v23, v23
	v_mul_f32_e32 v1, 0x3fb8aa3b, v1
	v_exp_f32_e32 v1, v1
	v_cmp_neq_f32_e32 vcc, s6, v19
	v_cndmask_b32_e32 v19, 0, v23, vcc
	v_mul_f32_e32 v23, v18, v19
	v_fmac_f32_e32 v1, v18, v19
	v_div_scale_f32 v18, s[6:7], v1, v1, v23
	v_rcp_f32_e32 v19, v18
	v_div_scale_f32 v24, vcc, v23, v1, v23
	v_fma_f32 v25, -v18, v19, 1.0
	v_fmac_f32_e32 v19, v25, v19
	v_mul_f32_e32 v25, v24, v19
	v_fma_f32 v26, -v18, v25, v24
	v_fmac_f32_e32 v25, v26, v19
	v_fma_f32 v18, -v18, v25, v24
	v_div_fmas_f32 v18, v18, v19, v25
	v_div_fixup_f32 v18, v18, v1, v23
	v_cmp_lt_f32_e32 vcc, 0, v1
	v_cndmask_b32_e32 v18, 1.0, v18, vcc
	ds_write_b32 v20, v18 offset:4932
	ds_write2_b32 v21, v1, v22 offset0:145 offset1:161
.LBB24_279:
	s_andn2_saveexec_b64 s[4:5], s[4:5]
	s_cbranch_execz .LBB24_281
; %bb.280:
	v_lshlrev_b32_e32 v1, 2, v40
	v_mov_b32_e32 v18, 1.0
	ds_write_b32 v1, v18 offset:4932
.LBB24_281:
	s_or_b64 exec, exec, s[4:5]
.LBB24_282:
	s_or_b64 exec, exec, s[2:3]
	v_or_b32_e32 v1, 2, v40
	v_cmp_le_u32_e32 vcc, s60, v1
	s_and_saveexec_b64 s[2:3], vcc
	s_xor_b64 s[2:3], exec, s[2:3]
	s_cbranch_execz .LBB24_286
; %bb.283:
	v_cmp_gt_u32_e32 vcc, 64, v0
	s_and_saveexec_b64 s[4:5], vcc
	s_cbranch_execz .LBB24_285
; %bb.284:
	v_lshlrev_b32_e32 v1, 2, v40
	v_mov_b32_e32 v18, 1.0
	ds_write_b32 v1, v18 offset:4936
.LBB24_285:
	s_or_b64 exec, exec, s[4:5]
.LBB24_286:
	s_andn2_saveexec_b64 s[2:3], s[2:3]
	s_cbranch_execz .LBB24_292
; %bb.287:
	s_ashr_i32 s4, s33, 31
	v_mov_b32_e32 v1, s4
	v_add_co_u32_e32 v18, vcc, s33, v40
	v_addc_co_u32_e32 v19, vcc, 0, v1, vcc
	v_lshlrev_b64 v[18:19], 1, v[18:19]
	v_mov_b32_e32 v1, s43
	v_add_co_u32_e32 v18, vcc, s42, v18
	v_addc_co_u32_e32 v19, vcc, v1, v19, vcc
	global_load_ushort v1, v[18:19], off offset:4
	s_movk_i32 s4, 0x1f8
	s_waitcnt vmcnt(0)
	v_lshlrev_b32_e32 v1, 16, v1
	v_cmp_class_f32_e64 s[4:5], v1, s4
	s_and_saveexec_b64 s[6:7], s[4:5]
	s_xor_b64 s[4:5], exec, s[6:7]
	s_cbranch_execz .LBB24_289
; %bb.288:
	v_lshlrev_b32_e32 v20, 2, v40
	v_add_u32_e32 v21, 0x1000, v20
	ds_read2_b32 v[18:19], v21 offset0:146 offset1:162
	v_max_f32_e32 v22, v1, v1
	s_mov_b32 s6, 0xff800000
	s_waitcnt lgkmcnt(0)
	v_max_f32_e32 v23, v19, v19
	v_max_f32_e32 v22, v23, v22
	v_sub_f32_e32 v23, v19, v22
	v_sub_f32_e32 v1, v1, v22
	v_mul_f32_e32 v23, 0x3fb8aa3b, v23
	v_exp_f32_e32 v23, v23
	v_mul_f32_e32 v1, 0x3fb8aa3b, v1
	v_exp_f32_e32 v1, v1
	v_cmp_neq_f32_e32 vcc, s6, v19
	v_cndmask_b32_e32 v19, 0, v23, vcc
	v_mul_f32_e32 v23, v18, v19
	v_fmac_f32_e32 v1, v18, v19
	v_div_scale_f32 v18, s[6:7], v1, v1, v23
	v_rcp_f32_e32 v19, v18
	v_div_scale_f32 v24, vcc, v23, v1, v23
	v_fma_f32 v25, -v18, v19, 1.0
	v_fmac_f32_e32 v19, v25, v19
	v_mul_f32_e32 v25, v24, v19
	v_fma_f32 v26, -v18, v25, v24
	v_fmac_f32_e32 v25, v26, v19
	v_fma_f32 v18, -v18, v25, v24
	v_div_fmas_f32 v18, v18, v19, v25
	v_div_fixup_f32 v18, v18, v1, v23
	v_cmp_lt_f32_e32 vcc, 0, v1
	v_cndmask_b32_e32 v18, 1.0, v18, vcc
	ds_write_b32 v20, v18 offset:4936
	ds_write2_b32 v21, v1, v22 offset0:146 offset1:162
.LBB24_289:
	s_andn2_saveexec_b64 s[4:5], s[4:5]
	s_cbranch_execz .LBB24_291
; %bb.290:
	v_lshlrev_b32_e32 v1, 2, v40
	v_mov_b32_e32 v18, 1.0
	ds_write_b32 v1, v18 offset:4936
.LBB24_291:
	s_or_b64 exec, exec, s[4:5]
.LBB24_292:
	s_or_b64 exec, exec, s[2:3]
	v_cmp_le_u32_e32 vcc, s60, v42
	s_and_saveexec_b64 s[2:3], vcc
	s_xor_b64 s[2:3], exec, s[2:3]
	s_cbranch_execz .LBB24_296
; %bb.293:
	v_cmp_gt_u32_e32 vcc, 64, v0
	s_and_saveexec_b64 s[4:5], vcc
	s_cbranch_execz .LBB24_295
; %bb.294:
	v_lshlrev_b32_e32 v1, 2, v40
	v_mov_b32_e32 v18, 1.0
	ds_write_b32 v1, v18 offset:4940
.LBB24_295:
	s_or_b64 exec, exec, s[4:5]
.LBB24_296:
	s_andn2_saveexec_b64 s[2:3], s[2:3]
	s_cbranch_execz .LBB24_301
; %bb.297:
	s_ashr_i32 s2, s33, 31
	v_mov_b32_e32 v1, s2
	v_add_co_u32_e32 v18, vcc, s33, v40
	v_addc_co_u32_e32 v19, vcc, 0, v1, vcc
	v_lshlrev_b64 v[18:19], 1, v[18:19]
	v_mov_b32_e32 v1, s43
	v_add_co_u32_e32 v18, vcc, s42, v18
	v_addc_co_u32_e32 v19, vcc, v1, v19, vcc
	global_load_ushort v1, v[18:19], off offset:6
	s_movk_i32 s2, 0x1f8
	s_waitcnt vmcnt(0)
	v_lshlrev_b32_e32 v18, 16, v1
	v_cmp_class_f32_e64 s[2:3], v18, s2
	v_lshlrev_b32_e32 v1, 2, v40
	s_and_saveexec_b64 s[4:5], s[2:3]
	s_xor_b64 s[2:3], exec, s[4:5]
	s_cbranch_execz .LBB24_299
; %bb.298:
	v_add_u32_e32 v19, 0x1000, v1
	ds_read2_b32 v[20:21], v19 offset0:147 offset1:163
	v_max_f32_e32 v22, v18, v18
	s_mov_b32 s4, 0xff800000
	s_waitcnt lgkmcnt(0)
	v_max_f32_e32 v23, v21, v21
	v_max_f32_e32 v22, v23, v22
	v_sub_f32_e32 v23, v21, v22
	v_sub_f32_e32 v18, v18, v22
	v_mul_f32_e32 v23, 0x3fb8aa3b, v23
	v_exp_f32_e32 v23, v23
	v_mul_f32_e32 v18, 0x3fb8aa3b, v18
	v_exp_f32_e32 v18, v18
	v_cmp_neq_f32_e32 vcc, s4, v21
	v_cndmask_b32_e32 v21, 0, v23, vcc
	v_mul_f32_e32 v23, v20, v21
	v_fmac_f32_e32 v18, v20, v21
	v_div_scale_f32 v20, s[4:5], v18, v18, v23
	v_rcp_f32_e32 v21, v20
	v_div_scale_f32 v24, vcc, v23, v18, v23
	v_fma_f32 v25, -v20, v21, 1.0
	v_fmac_f32_e32 v21, v25, v21
	v_mul_f32_e32 v25, v24, v21
	v_fma_f32 v26, -v20, v25, v24
	v_fmac_f32_e32 v25, v26, v21
	v_fma_f32 v20, -v20, v25, v24
	v_div_fmas_f32 v20, v20, v21, v25
	v_div_fixup_f32 v20, v20, v18, v23
	v_cmp_lt_f32_e32 vcc, 0, v18
	v_cndmask_b32_e32 v20, 1.0, v20, vcc
	ds_write_b32 v1, v20 offset:4940
	ds_write2_b32 v19, v18, v22 offset0:147 offset1:163
                                        ; implicit-def: $vgpr1
.LBB24_299:
	s_andn2_saveexec_b64 s[2:3], s[2:3]
	s_cbranch_execz .LBB24_301
; %bb.300:
	v_mov_b32_e32 v18, 1.0
	ds_write_b32 v1, v18 offset:4940
.LBB24_301:
	s_or_b64 exec, exec, s[0:1]
	s_waitcnt lgkmcnt(0)
	s_barrier
	ds_read_b96 v[18:20], v41 offset:4928
	v_cmp_gt_u32_e32 vcc, 64, v0
	v_mov_b32_e32 v1, 1.0
	s_and_saveexec_b64 s[0:1], vcc
	s_cbranch_execz .LBB24_303
; %bb.302:
	v_lshl_or_b32 v1, v40, 2, 12
	ds_read_b32 v1, v1 offset:4928
.LBB24_303:
	s_or_b64 exec, exec, s[0:1]
	s_waitcnt lgkmcnt(0)
	v_pk_mul_f32 v[14:15], v[14:15], v[18:19]
	v_pk_mul_f32 v[10:11], v[10:11], v[18:19]
	;; [unrolled: 1-line block ×4, first 2 shown]
	v_mul_f32_e32 v12, v12, v20
	v_mul_f32_e32 v4, v4, v20
	;; [unrolled: 1-line block ×8, first 2 shown]
.LBB24_304:
	s_lshl_b64 s[0:1], s[52:53], 2
	s_add_u32 s2, s50, s0
	v_or_b32_e32 v0, 48, v0
	s_addc_u32 s3, s51, s1
	v_cmp_gt_u32_e32 vcc, s49, v39
	v_lshlrev_b32_e32 v1, 2, v38
	v_lshlrev_b32_e32 v0, 2, v0
	s_and_saveexec_b64 s[0:1], vcc
	s_cbranch_execz .LBB24_308
; %bb.305:
	v_add_u32_e32 v18, s33, v39
	v_ashrrev_i32_e32 v19, 31, v18
	v_lshlrev_b64 v[18:19], 8, v[18:19]
	v_mov_b32_e32 v20, s3
	v_add_co_u32_e32 v21, vcc, s2, v18
	v_addc_co_u32_e32 v20, vcc, v20, v19, vcc
	v_add_co_u32_e32 v18, vcc, v21, v1
	v_addc_co_u32_e32 v19, vcc, 0, v20, vcc
	global_store_dword v[18:19], v10, off
	global_store_dword v[18:19], v2, off offset:64
	global_store_dword v[18:19], v6, off offset:128
	v_add_co_u32_e32 v18, vcc, v21, v0
	v_addc_co_u32_e32 v19, vcc, 0, v20, vcc
	global_store_dword v[18:19], v14, off
	s_or_b64 exec, exec, s[0:1]
	v_cmp_gt_u32_e32 vcc, s60, v44
	s_and_saveexec_b64 s[0:1], vcc
	s_cbranch_execnz .LBB24_309
.LBB24_306:
	s_or_b64 exec, exec, s[0:1]
	v_cmp_gt_u32_e32 vcc, s60, v43
	s_and_saveexec_b64 s[0:1], vcc
	s_cbranch_execz .LBB24_310
.LBB24_307:
	v_add_u32_e32 v2, s33, v43
	v_ashrrev_i32_e32 v3, 31, v2
	v_lshlrev_b64 v[2:3], 8, v[2:3]
	v_mov_b32_e32 v6, s3
	v_add_co_u32_e32 v7, vcc, s2, v2
	v_addc_co_u32_e32 v6, vcc, v6, v3, vcc
	v_add_co_u32_e32 v2, vcc, v7, v1
	v_addc_co_u32_e32 v3, vcc, 0, v6, vcc
	global_store_dword v[2:3], v12, off
	global_store_dword v[2:3], v4, off offset:64
	global_store_dword v[2:3], v8, off offset:128
	v_add_co_u32_e32 v2, vcc, v7, v0
	v_addc_co_u32_e32 v3, vcc, 0, v6, vcc
	global_store_dword v[2:3], v16, off
	s_or_b64 exec, exec, s[0:1]
	v_cmp_gt_u32_e32 vcc, s60, v42
	s_and_b64 exec, exec, vcc
	s_cbranch_execnz .LBB24_311
	s_branch .LBB24_312
.LBB24_308:
	s_or_b64 exec, exec, s[0:1]
	v_cmp_gt_u32_e32 vcc, s60, v44
	s_and_saveexec_b64 s[0:1], vcc
	s_cbranch_execz .LBB24_306
.LBB24_309:
	v_add_u32_e32 v18, s33, v44
	v_ashrrev_i32_e32 v19, 31, v18
	v_lshlrev_b64 v[18:19], 8, v[18:19]
	v_mov_b32_e32 v2, s3
	v_add_co_u32_e32 v6, vcc, s2, v18
	v_addc_co_u32_e32 v10, vcc, v2, v19, vcc
	v_add_co_u32_e32 v18, vcc, v6, v1
	v_addc_co_u32_e32 v19, vcc, 0, v10, vcc
	v_add_co_u32_e32 v2, vcc, v6, v0
	global_store_dword v[18:19], v11, off
	global_store_dword v[18:19], v3, off offset:64
	global_store_dword v[18:19], v7, off offset:128
	v_addc_co_u32_e32 v3, vcc, 0, v10, vcc
	global_store_dword v[2:3], v15, off
	s_or_b64 exec, exec, s[0:1]
	v_cmp_gt_u32_e32 vcc, s60, v43
	s_and_saveexec_b64 s[0:1], vcc
	s_cbranch_execnz .LBB24_307
.LBB24_310:
	s_or_b64 exec, exec, s[0:1]
	v_cmp_gt_u32_e32 vcc, s60, v42
	s_and_b64 exec, exec, vcc
	s_cbranch_execz .LBB24_312
.LBB24_311:
	v_add_u32_e32 v2, s33, v42
	v_ashrrev_i32_e32 v3, 31, v2
	v_lshlrev_b64 v[2:3], 8, v[2:3]
	v_mov_b32_e32 v4, s3
	v_add_co_u32_e32 v6, vcc, s2, v2
	v_addc_co_u32_e32 v4, vcc, v4, v3, vcc
	v_add_co_u32_e32 v2, vcc, v6, v1
	v_addc_co_u32_e32 v3, vcc, 0, v4, vcc
	;; [unrolled: 2-line block ×3, first 2 shown]
	global_store_dword v[2:3], v13, off
	global_store_dword v[2:3], v5, off offset:64
	global_store_dword v[2:3], v9, off offset:128
	global_store_dword v[0:1], v17, off
.LBB24_312:
	s_endpgm
	.section	.rodata,"a",@progbits
	.p2align	6, 0x0
	.amdhsa_kernel _Z22fa2_decode_mfma_head64IfLb1ELi16ELi16EEvPKfPKvS3_S1_PK14__hip_bfloat16PfiiiiiiiiPKiS9_xPKxS9_S9_i
		.amdhsa_group_segment_fixed_size 4992
		.amdhsa_private_segment_fixed_size 0
		.amdhsa_kernarg_size 132
		.amdhsa_user_sgpr_count 6
		.amdhsa_user_sgpr_private_segment_buffer 1
		.amdhsa_user_sgpr_dispatch_ptr 0
		.amdhsa_user_sgpr_queue_ptr 0
		.amdhsa_user_sgpr_kernarg_segment_ptr 1
		.amdhsa_user_sgpr_dispatch_id 0
		.amdhsa_user_sgpr_flat_scratch_init 0
		.amdhsa_user_sgpr_kernarg_preload_length 0
		.amdhsa_user_sgpr_kernarg_preload_offset 0
		.amdhsa_user_sgpr_private_segment_size 0
		.amdhsa_uses_dynamic_stack 0
		.amdhsa_system_sgpr_private_segment_wavefront_offset 0
		.amdhsa_system_sgpr_workgroup_id_x 1
		.amdhsa_system_sgpr_workgroup_id_y 1
		.amdhsa_system_sgpr_workgroup_id_z 0
		.amdhsa_system_sgpr_workgroup_info 0
		.amdhsa_system_vgpr_workitem_id 0
		.amdhsa_next_free_vgpr 96
		.amdhsa_next_free_sgpr 83
		.amdhsa_accum_offset 96
		.amdhsa_reserve_vcc 1
		.amdhsa_reserve_flat_scratch 0
		.amdhsa_float_round_mode_32 0
		.amdhsa_float_round_mode_16_64 0
		.amdhsa_float_denorm_mode_32 3
		.amdhsa_float_denorm_mode_16_64 3
		.amdhsa_dx10_clamp 1
		.amdhsa_ieee_mode 1
		.amdhsa_fp16_overflow 0
		.amdhsa_tg_split 0
		.amdhsa_exception_fp_ieee_invalid_op 0
		.amdhsa_exception_fp_denorm_src 0
		.amdhsa_exception_fp_ieee_div_zero 0
		.amdhsa_exception_fp_ieee_overflow 0
		.amdhsa_exception_fp_ieee_underflow 0
		.amdhsa_exception_fp_ieee_inexact 0
		.amdhsa_exception_int_div_zero 0
	.end_amdhsa_kernel
	.section	.text._Z22fa2_decode_mfma_head64IfLb1ELi16ELi16EEvPKfPKvS3_S1_PK14__hip_bfloat16PfiiiiiiiiPKiS9_xPKxS9_S9_i,"axG",@progbits,_Z22fa2_decode_mfma_head64IfLb1ELi16ELi16EEvPKfPKvS3_S1_PK14__hip_bfloat16PfiiiiiiiiPKiS9_xPKxS9_S9_i,comdat
.Lfunc_end24:
	.size	_Z22fa2_decode_mfma_head64IfLb1ELi16ELi16EEvPKfPKvS3_S1_PK14__hip_bfloat16PfiiiiiiiiPKiS9_xPKxS9_S9_i, .Lfunc_end24-_Z22fa2_decode_mfma_head64IfLb1ELi16ELi16EEvPKfPKvS3_S1_PK14__hip_bfloat16PfiiiiiiiiPKiS9_xPKxS9_S9_i
                                        ; -- End function
	.section	.AMDGPU.csdata,"",@progbits
; Kernel info:
; codeLenInByte = 11344
; NumSgprs: 87
; NumVgprs: 96
; NumAgprs: 0
; TotalNumVgprs: 96
; ScratchSize: 0
; MemoryBound: 0
; FloatMode: 240
; IeeeMode: 1
; LDSByteSize: 4992 bytes/workgroup (compile time only)
; SGPRBlocks: 10
; VGPRBlocks: 11
; NumSGPRsForWavesPerEU: 87
; NumVGPRsForWavesPerEU: 96
; AccumOffset: 96
; Occupancy: 5
; WaveLimiterHint : 1
; COMPUTE_PGM_RSRC2:SCRATCH_EN: 0
; COMPUTE_PGM_RSRC2:USER_SGPR: 6
; COMPUTE_PGM_RSRC2:TRAP_HANDLER: 0
; COMPUTE_PGM_RSRC2:TGID_X_EN: 1
; COMPUTE_PGM_RSRC2:TGID_Y_EN: 1
; COMPUTE_PGM_RSRC2:TGID_Z_EN: 0
; COMPUTE_PGM_RSRC2:TIDIG_COMP_CNT: 0
; COMPUTE_PGM_RSRC3_GFX90A:ACCUM_OFFSET: 23
; COMPUTE_PGM_RSRC3_GFX90A:TG_SPLIT: 0
	.section	.text._Z22fa2_decode_mfma_head64IfLb0ELi16ELi16EEvPKfPKvS3_S1_PK14__hip_bfloat16PfiiiiiiiiPKiS9_xPKxS9_S9_i,"axG",@progbits,_Z22fa2_decode_mfma_head64IfLb0ELi16ELi16EEvPKfPKvS3_S1_PK14__hip_bfloat16PfiiiiiiiiPKiS9_xPKxS9_S9_i,comdat
	.protected	_Z22fa2_decode_mfma_head64IfLb0ELi16ELi16EEvPKfPKvS3_S1_PK14__hip_bfloat16PfiiiiiiiiPKiS9_xPKxS9_S9_i ; -- Begin function _Z22fa2_decode_mfma_head64IfLb0ELi16ELi16EEvPKfPKvS3_S1_PK14__hip_bfloat16PfiiiiiiiiPKiS9_xPKxS9_S9_i
	.globl	_Z22fa2_decode_mfma_head64IfLb0ELi16ELi16EEvPKfPKvS3_S1_PK14__hip_bfloat16PfiiiiiiiiPKiS9_xPKxS9_S9_i
	.p2align	8
	.type	_Z22fa2_decode_mfma_head64IfLb0ELi16ELi16EEvPKfPKvS3_S1_PK14__hip_bfloat16PfiiiiiiiiPKiS9_xPKxS9_S9_i,@function
_Z22fa2_decode_mfma_head64IfLb0ELi16ELi16EEvPKfPKvS3_S1_PK14__hip_bfloat16PfiiiiiiiiPKiS9_xPKxS9_S9_i: ; @_Z22fa2_decode_mfma_head64IfLb0ELi16ELi16EEvPKfPKvS3_S1_PK14__hip_bfloat16PfiiiiiiiiPKiS9_xPKxS9_S9_i
; %bb.0:
	s_load_dword s0, s[4:5], 0x30
	s_load_dwordx2 s[38:39], s[4:5], 0x3c
	v_cmp_gt_u32_e32 vcc, 64, v0
	s_waitcnt lgkmcnt(0)
	s_cmp_lt_i32 s7, s0
	s_cselect_b64 s[0:1], -1, 0
	s_and_b64 s[0:1], vcc, s[0:1]
	s_cmp_gt_i32 s39, 0
	s_cselect_b64 s[8:9], -1, 0
	s_and_b64 s[0:1], s[0:1], s[8:9]
	s_and_saveexec_b64 s[8:9], s[0:1]
	s_cbranch_execz .LBB25_288
; %bb.1:
	s_load_dwordx2 s[16:17], s[4:5], 0x48
	s_mul_i32 s33, s6, s39
	s_waitcnt lgkmcnt(0)
	s_cmp_ge_i32 s33, s17
	s_cbranch_scc1 .LBB25_288
; %bb.2:
	s_mov_b32 s2, s7
	s_load_dwordx4 s[8:11], s[4:5], 0x50
	s_load_dwordx2 s[0:1], s[4:5], 0x78
	s_load_dwordx4 s[24:27], s[4:5], 0x68
	s_load_dwordx2 s[18:19], s[4:5], 0x0
	s_ashr_i32 s3, s7, 31
	s_lshl_b64 s[12:13], s[2:3], 2
	s_waitcnt lgkmcnt(0)
	s_add_u32 s14, s8, s12
	s_addc_u32 s15, s9, s13
	s_ashr_i32 s9, s16, 31
	s_mov_b32 s8, s16
	s_lshl_b64 s[28:29], s[8:9], 2
	s_add_u32 s20, s0, s28
	s_addc_u32 s21, s1, s29
	s_lshl_b64 s[0:1], s[8:9], 3
	s_add_u32 s22, s24, s0
	s_addc_u32 s23, s25, s1
	s_add_u32 s24, s26, s28
	s_addc_u32 s25, s27, s29
	;; [unrolled: 2-line block ×3, first 2 shown]
	v_cmp_gt_u32_e64 s[0:1], 16, v0
	v_lshlrev_b32_e32 v1, 2, v0
	s_and_saveexec_b64 s[8:9], s[0:1]
	s_cbranch_execz .LBB25_4
; %bb.3:
	v_mov_b32_e32 v2, 0xff800000
	v_mov_b32_e32 v3, 0
	v_add_u32_e32 v4, 0x1000, v1
	ds_write2_b32 v4, v3, v2 offset0:144 offset1:160
.LBB25_4:
	s_or_b64 exec, exec, s[8:9]
	s_load_dwordx4 s[8:11], s[4:5], 0x8
	s_load_dwordx4 s[40:43], s[4:5], 0x20
	s_load_dwordx2 s[12:13], s[22:23], 0x0
	s_load_dword s58, s[14:15], 0x0
	s_load_dword s28, s[20:21], 0x0
	;; [unrolled: 1-line block ×4, first 2 shown]
	s_mul_hi_i32 s15, s2, s17
	s_mul_i32 s14, s2, s17
	v_and_b32_e32 v38, 15, v0
	s_lshl_b64 s[2:3], s[14:15], 8
	v_add_u32_e32 v2, s33, v38
	s_add_u32 s16, s18, s2
	v_rsq_f32_e32 v4, 0x42800000
	v_ashrrev_i32_e32 v3, 31, v2
	s_addc_u32 s17, s19, s3
	v_lshlrev_b64 v[2:3], 8, v[2:3]
	v_lshrrev_b32_e32 v40, 2, v0
	v_mov_b32_e32 v6, s17
	v_add_co_u32_e32 v5, vcc, s16, v2
	v_and_b32_e32 v39, 12, v40
	v_mov_b32_e32 v23, 0
	v_cmp_gt_u32_e64 s[2:3], s39, v38
	v_addc_co_u32_e32 v6, vcc, v6, v3, vcc
	v_lshlrev_b32_e32 v41, 2, v39
	v_mov_b32_e32 v22, v23
	s_waitcnt lgkmcnt(0)
	s_barrier
	s_and_saveexec_b64 s[16:17], s[2:3]
	s_cbranch_execz .LBB25_22
; %bb.5:
	v_add_co_u32_e32 v2, vcc, v5, v41
	v_addc_co_u32_e32 v3, vcc, 0, v6, vcc
	global_load_dword v7, v[2:3], off
	s_mov_b32 s18, 0x7f800000
	s_waitcnt vmcnt(0)
	v_mul_f32_e32 v8, v4, v7
	v_and_b32_e32 v7, 0x7f800000, v8
	v_cmp_ne_u32_e32 vcc, s18, v7
                                        ; implicit-def: $vgpr7
	s_and_saveexec_b64 s[18:19], vcc
	s_xor_b64 s[18:19], exec, s[18:19]
; %bb.6:
	v_bfe_u32 v7, v8, 16, 1
	s_movk_i32 s20, 0x7fff
	v_add3_u32 v7, v8, v7, s20
                                        ; implicit-def: $vgpr8
; %bb.7:
	s_andn2_saveexec_b64 s[18:19], s[18:19]
; %bb.8:
	v_mov_b32_e32 v7, 0
	v_or_b32_e32 v9, 0x10000, v8
	v_cmp_eq_u32_sdwa vcc, v8, v7 src0_sel:WORD_0 src1_sel:DWORD
	v_cndmask_b32_e32 v7, v9, v8, vcc
; %bb.9:
	s_or_b64 exec, exec, s[18:19]
	global_load_dword v8, v[2:3], off offset:4
	s_mov_b32 s18, 0x7f800000
	s_waitcnt vmcnt(0)
	v_mul_f32_e32 v9, v4, v8
	v_and_b32_e32 v8, 0x7f800000, v9
	v_cmp_ne_u32_e32 vcc, s18, v8
                                        ; implicit-def: $vgpr8
	s_and_saveexec_b64 s[18:19], vcc
	s_xor_b64 s[18:19], exec, s[18:19]
; %bb.10:
	v_bfe_u32 v8, v9, 16, 1
	s_movk_i32 s20, 0x7fff
	v_add3_u32 v8, v9, v8, s20
                                        ; implicit-def: $vgpr9
; %bb.11:
	s_andn2_saveexec_b64 s[18:19], s[18:19]
; %bb.12:
	v_mov_b32_e32 v8, 0
	v_or_b32_e32 v10, 0x10000, v9
	v_cmp_eq_u32_sdwa vcc, v9, v8 src0_sel:WORD_0 src1_sel:DWORD
	v_cndmask_b32_e32 v8, v10, v9, vcc
; %bb.13:
	s_or_b64 exec, exec, s[18:19]
	global_load_dword v2, v[2:3], off offset:8
	s_mov_b32 s18, 0x7f800000
	s_waitcnt vmcnt(0)
	v_mul_f32_e32 v3, v4, v2
	v_and_b32_e32 v2, 0x7f800000, v3
	v_cmp_ne_u32_e32 vcc, s18, v2
                                        ; implicit-def: $vgpr2
	s_and_saveexec_b64 s[18:19], vcc
	s_xor_b64 s[18:19], exec, s[18:19]
; %bb.14:
	v_bfe_u32 v2, v3, 16, 1
	s_movk_i32 s20, 0x7fff
	v_add3_u32 v2, v3, v2, s20
                                        ; implicit-def: $vgpr3
; %bb.15:
	s_andn2_saveexec_b64 s[18:19], s[18:19]
; %bb.16:
	v_mov_b32_e32 v2, 0
	v_or_b32_e32 v9, 0x10000, v3
	v_cmp_eq_u32_sdwa vcc, v3, v2 src0_sel:WORD_0 src1_sel:DWORD
	v_cndmask_b32_e32 v2, v9, v3, vcc
; %bb.17:
	s_or_b64 exec, exec, s[18:19]
	v_lshl_or_b32 v3, v40, 2, 12
	v_add_co_u32_e32 v10, vcc, v5, v3
	v_addc_co_u32_e32 v11, vcc, 0, v6, vcc
	global_load_dword v3, v[10:11], off
	s_mov_b32 s18, 0x7f800000
	s_waitcnt vmcnt(0)
	v_mul_f32_e32 v3, v4, v3
	v_and_b32_e32 v9, 0x7f800000, v3
	v_cmp_ne_u32_e32 vcc, s18, v9
                                        ; implicit-def: $vgpr9
	s_and_saveexec_b64 s[18:19], vcc
	s_xor_b64 s[18:19], exec, s[18:19]
; %bb.18:
	v_bfe_u32 v9, v3, 16, 1
	s_movk_i32 s20, 0x7fff
	v_add3_u32 v9, v3, v9, s20
                                        ; implicit-def: $vgpr3
; %bb.19:
	s_andn2_saveexec_b64 s[18:19], s[18:19]
; %bb.20:
	v_mov_b32_e32 v9, 0
	v_or_b32_e32 v10, 0x10000, v3
	v_cmp_eq_u32_sdwa vcc, v3, v9 src0_sel:WORD_0 src1_sel:DWORD
	v_cndmask_b32_e32 v9, v10, v3, vcc
; %bb.21:
	s_or_b64 exec, exec, s[18:19]
	s_mov_b32 s18, 0x7060302
	v_perm_b32 v22, v8, v7, s18
	v_perm_b32 v23, v9, v2, s18
.LBB25_22:
	s_or_b64 exec, exec, s[16:17]
	v_mov_b32_e32 v25, 0
	s_lshl_b64 s[48:49], s[14:15], 6
	v_mov_b32_e32 v24, v25
	s_and_saveexec_b64 s[14:15], s[2:3]
	s_cbranch_execz .LBB25_40
; %bb.23:
	v_add_co_u32_e32 v2, vcc, v5, v41
	v_addc_co_u32_e32 v3, vcc, 0, v6, vcc
	global_load_dword v7, v[2:3], off offset:64
	s_mov_b32 s16, 0x7f800000
	s_waitcnt vmcnt(0)
	v_mul_f32_e32 v8, v4, v7
	v_and_b32_e32 v7, 0x7f800000, v8
	v_cmp_ne_u32_e32 vcc, s16, v7
                                        ; implicit-def: $vgpr7
	s_and_saveexec_b64 s[16:17], vcc
	s_xor_b64 s[16:17], exec, s[16:17]
; %bb.24:
	v_bfe_u32 v7, v8, 16, 1
	s_movk_i32 s18, 0x7fff
	v_add3_u32 v7, v8, v7, s18
                                        ; implicit-def: $vgpr8
; %bb.25:
	s_andn2_saveexec_b64 s[16:17], s[16:17]
; %bb.26:
	v_mov_b32_e32 v7, 0
	v_or_b32_e32 v9, 0x10000, v8
	v_cmp_eq_u32_sdwa vcc, v8, v7 src0_sel:WORD_0 src1_sel:DWORD
	v_cndmask_b32_e32 v7, v9, v8, vcc
; %bb.27:
	s_or_b64 exec, exec, s[16:17]
	global_load_dword v8, v[2:3], off offset:68
	s_mov_b32 s16, 0x7f800000
	s_waitcnt vmcnt(0)
	v_mul_f32_e32 v9, v4, v8
	v_and_b32_e32 v8, 0x7f800000, v9
	v_cmp_ne_u32_e32 vcc, s16, v8
                                        ; implicit-def: $vgpr8
	s_and_saveexec_b64 s[16:17], vcc
	s_xor_b64 s[16:17], exec, s[16:17]
; %bb.28:
	v_bfe_u32 v8, v9, 16, 1
	s_movk_i32 s18, 0x7fff
	v_add3_u32 v8, v9, v8, s18
                                        ; implicit-def: $vgpr9
; %bb.29:
	s_andn2_saveexec_b64 s[16:17], s[16:17]
; %bb.30:
	v_mov_b32_e32 v8, 0
	v_or_b32_e32 v10, 0x10000, v9
	v_cmp_eq_u32_sdwa vcc, v9, v8 src0_sel:WORD_0 src1_sel:DWORD
	v_cndmask_b32_e32 v8, v10, v9, vcc
; %bb.31:
	s_or_b64 exec, exec, s[16:17]
	global_load_dword v2, v[2:3], off offset:72
	s_mov_b32 s16, 0x7f800000
	s_waitcnt vmcnt(0)
	v_mul_f32_e32 v3, v4, v2
	v_and_b32_e32 v2, 0x7f800000, v3
	v_cmp_ne_u32_e32 vcc, s16, v2
                                        ; implicit-def: $vgpr2
	s_and_saveexec_b64 s[16:17], vcc
	s_xor_b64 s[16:17], exec, s[16:17]
; %bb.32:
	v_bfe_u32 v2, v3, 16, 1
	s_movk_i32 s18, 0x7fff
	v_add3_u32 v2, v3, v2, s18
                                        ; implicit-def: $vgpr3
; %bb.33:
	s_andn2_saveexec_b64 s[16:17], s[16:17]
; %bb.34:
	v_mov_b32_e32 v2, 0
	v_or_b32_e32 v9, 0x10000, v3
	v_cmp_eq_u32_sdwa vcc, v3, v2 src0_sel:WORD_0 src1_sel:DWORD
	v_cndmask_b32_e32 v2, v9, v3, vcc
; %bb.35:
	s_or_b64 exec, exec, s[16:17]
	v_mov_b32_e32 v3, 0x4c
	v_lshl_or_b32 v3, v40, 2, v3
	v_add_co_u32_e32 v10, vcc, v5, v3
	v_addc_co_u32_e32 v11, vcc, 0, v6, vcc
	global_load_dword v3, v[10:11], off
	s_mov_b32 s16, 0x7f800000
	s_waitcnt vmcnt(0)
	v_mul_f32_e32 v3, v4, v3
	v_and_b32_e32 v9, 0x7f800000, v3
	v_cmp_ne_u32_e32 vcc, s16, v9
                                        ; implicit-def: $vgpr9
	s_and_saveexec_b64 s[16:17], vcc
	s_xor_b64 s[16:17], exec, s[16:17]
; %bb.36:
	v_bfe_u32 v9, v3, 16, 1
	s_movk_i32 s18, 0x7fff
	v_add3_u32 v9, v3, v9, s18
                                        ; implicit-def: $vgpr3
; %bb.37:
	s_andn2_saveexec_b64 s[16:17], s[16:17]
; %bb.38:
	v_mov_b32_e32 v9, 0
	v_or_b32_e32 v10, 0x10000, v3
	v_cmp_eq_u32_sdwa vcc, v3, v9 src0_sel:WORD_0 src1_sel:DWORD
	v_cndmask_b32_e32 v9, v10, v3, vcc
; %bb.39:
	s_or_b64 exec, exec, s[16:17]
	s_mov_b32 s16, 0x7060302
	v_perm_b32 v24, v8, v7, s16
	v_perm_b32 v25, v9, v2, s16
.LBB25_40:
	s_or_b64 exec, exec, s[14:15]
	v_mov_b32_e32 v27, 0
	v_mov_b32_e32 v26, v27
	s_and_saveexec_b64 s[14:15], s[2:3]
	s_cbranch_execz .LBB25_58
; %bb.41:
	v_add_co_u32_e32 v2, vcc, v5, v41
	v_addc_co_u32_e32 v3, vcc, 0, v6, vcc
	global_load_dword v7, v[2:3], off offset:128
	s_mov_b32 s16, 0x7f800000
	s_waitcnt vmcnt(0)
	v_mul_f32_e32 v8, v4, v7
	v_and_b32_e32 v7, 0x7f800000, v8
	v_cmp_ne_u32_e32 vcc, s16, v7
                                        ; implicit-def: $vgpr7
	s_and_saveexec_b64 s[16:17], vcc
	s_xor_b64 s[16:17], exec, s[16:17]
; %bb.42:
	v_bfe_u32 v7, v8, 16, 1
	s_movk_i32 s18, 0x7fff
	v_add3_u32 v7, v8, v7, s18
                                        ; implicit-def: $vgpr8
; %bb.43:
	s_andn2_saveexec_b64 s[16:17], s[16:17]
; %bb.44:
	v_mov_b32_e32 v7, 0
	v_or_b32_e32 v9, 0x10000, v8
	v_cmp_eq_u32_sdwa vcc, v8, v7 src0_sel:WORD_0 src1_sel:DWORD
	v_cndmask_b32_e32 v7, v9, v8, vcc
; %bb.45:
	s_or_b64 exec, exec, s[16:17]
	global_load_dword v8, v[2:3], off offset:132
	s_mov_b32 s16, 0x7f800000
	s_waitcnt vmcnt(0)
	v_mul_f32_e32 v9, v4, v8
	v_and_b32_e32 v8, 0x7f800000, v9
	v_cmp_ne_u32_e32 vcc, s16, v8
                                        ; implicit-def: $vgpr8
	s_and_saveexec_b64 s[16:17], vcc
	s_xor_b64 s[16:17], exec, s[16:17]
; %bb.46:
	v_bfe_u32 v8, v9, 16, 1
	s_movk_i32 s18, 0x7fff
	v_add3_u32 v8, v9, v8, s18
                                        ; implicit-def: $vgpr9
; %bb.47:
	s_andn2_saveexec_b64 s[16:17], s[16:17]
; %bb.48:
	v_mov_b32_e32 v8, 0
	v_or_b32_e32 v10, 0x10000, v9
	v_cmp_eq_u32_sdwa vcc, v9, v8 src0_sel:WORD_0 src1_sel:DWORD
	v_cndmask_b32_e32 v8, v10, v9, vcc
; %bb.49:
	s_or_b64 exec, exec, s[16:17]
	global_load_dword v2, v[2:3], off offset:136
	s_mov_b32 s16, 0x7f800000
	s_waitcnt vmcnt(0)
	v_mul_f32_e32 v3, v4, v2
	v_and_b32_e32 v2, 0x7f800000, v3
	v_cmp_ne_u32_e32 vcc, s16, v2
                                        ; implicit-def: $vgpr2
	s_and_saveexec_b64 s[16:17], vcc
	s_xor_b64 s[16:17], exec, s[16:17]
; %bb.50:
	v_bfe_u32 v2, v3, 16, 1
	s_movk_i32 s18, 0x7fff
	v_add3_u32 v2, v3, v2, s18
                                        ; implicit-def: $vgpr3
; %bb.51:
	s_andn2_saveexec_b64 s[16:17], s[16:17]
; %bb.52:
	v_mov_b32_e32 v2, 0
	v_or_b32_e32 v9, 0x10000, v3
	v_cmp_eq_u32_sdwa vcc, v3, v2 src0_sel:WORD_0 src1_sel:DWORD
	v_cndmask_b32_e32 v2, v9, v3, vcc
; %bb.53:
	s_or_b64 exec, exec, s[16:17]
	v_mov_b32_e32 v3, 0x8c
	v_lshl_or_b32 v3, v40, 2, v3
	v_add_co_u32_e32 v10, vcc, v5, v3
	v_addc_co_u32_e32 v11, vcc, 0, v6, vcc
	global_load_dword v3, v[10:11], off
	s_mov_b32 s16, 0x7f800000
	s_waitcnt vmcnt(0)
	v_mul_f32_e32 v3, v4, v3
	v_and_b32_e32 v9, 0x7f800000, v3
	v_cmp_ne_u32_e32 vcc, s16, v9
                                        ; implicit-def: $vgpr9
	s_and_saveexec_b64 s[16:17], vcc
	s_xor_b64 s[16:17], exec, s[16:17]
; %bb.54:
	v_bfe_u32 v9, v3, 16, 1
	s_movk_i32 s18, 0x7fff
	v_add3_u32 v9, v3, v9, s18
                                        ; implicit-def: $vgpr3
; %bb.55:
	s_andn2_saveexec_b64 s[16:17], s[16:17]
; %bb.56:
	v_mov_b32_e32 v9, 0
	v_or_b32_e32 v10, 0x10000, v3
	v_cmp_eq_u32_sdwa vcc, v3, v9 src0_sel:WORD_0 src1_sel:DWORD
	v_cndmask_b32_e32 v9, v10, v3, vcc
; %bb.57:
	s_or_b64 exec, exec, s[16:17]
	s_mov_b32 s16, 0x7060302
	v_perm_b32 v26, v8, v7, s16
	v_perm_b32 v27, v9, v2, s16
.LBB25_58:
	s_or_b64 exec, exec, s[14:15]
	v_mov_b32_e32 v29, 0
	v_mov_b32_e32 v28, v29
	s_and_saveexec_b64 s[14:15], s[2:3]
	s_cbranch_execz .LBB25_76
; %bb.59:
	v_add_co_u32_e32 v2, vcc, v5, v41
	v_addc_co_u32_e32 v3, vcc, 0, v6, vcc
	global_load_dword v7, v[2:3], off offset:192
	s_mov_b32 s16, 0x7f800000
	s_waitcnt vmcnt(0)
	v_mul_f32_e32 v8, v4, v7
	v_and_b32_e32 v7, 0x7f800000, v8
	v_cmp_ne_u32_e32 vcc, s16, v7
                                        ; implicit-def: $vgpr7
	s_and_saveexec_b64 s[16:17], vcc
	s_xor_b64 s[16:17], exec, s[16:17]
; %bb.60:
	v_bfe_u32 v7, v8, 16, 1
	s_movk_i32 s18, 0x7fff
	v_add3_u32 v7, v8, v7, s18
                                        ; implicit-def: $vgpr8
; %bb.61:
	s_andn2_saveexec_b64 s[16:17], s[16:17]
; %bb.62:
	v_mov_b32_e32 v7, 0
	v_or_b32_e32 v9, 0x10000, v8
	v_cmp_eq_u32_sdwa vcc, v8, v7 src0_sel:WORD_0 src1_sel:DWORD
	v_cndmask_b32_e32 v7, v9, v8, vcc
; %bb.63:
	s_or_b64 exec, exec, s[16:17]
	global_load_dword v8, v[2:3], off offset:196
	s_mov_b32 s16, 0x7f800000
	s_waitcnt vmcnt(0)
	v_mul_f32_e32 v9, v4, v8
	v_and_b32_e32 v8, 0x7f800000, v9
	v_cmp_ne_u32_e32 vcc, s16, v8
                                        ; implicit-def: $vgpr8
	s_and_saveexec_b64 s[16:17], vcc
	s_xor_b64 s[16:17], exec, s[16:17]
; %bb.64:
	v_bfe_u32 v8, v9, 16, 1
	s_movk_i32 s18, 0x7fff
	v_add3_u32 v8, v9, v8, s18
                                        ; implicit-def: $vgpr9
; %bb.65:
	s_andn2_saveexec_b64 s[16:17], s[16:17]
; %bb.66:
	v_mov_b32_e32 v8, 0
	v_or_b32_e32 v10, 0x10000, v9
	v_cmp_eq_u32_sdwa vcc, v9, v8 src0_sel:WORD_0 src1_sel:DWORD
	v_cndmask_b32_e32 v8, v10, v9, vcc
; %bb.67:
	s_or_b64 exec, exec, s[16:17]
	global_load_dword v2, v[2:3], off offset:200
	s_mov_b32 s16, 0x7f800000
	s_waitcnt vmcnt(0)
	v_mul_f32_e32 v3, v4, v2
	v_and_b32_e32 v2, 0x7f800000, v3
	v_cmp_ne_u32_e32 vcc, s16, v2
                                        ; implicit-def: $vgpr2
	s_and_saveexec_b64 s[16:17], vcc
	s_xor_b64 s[16:17], exec, s[16:17]
; %bb.68:
	v_bfe_u32 v2, v3, 16, 1
	s_movk_i32 s18, 0x7fff
	v_add3_u32 v2, v3, v2, s18
                                        ; implicit-def: $vgpr3
; %bb.69:
	s_andn2_saveexec_b64 s[16:17], s[16:17]
; %bb.70:
	v_mov_b32_e32 v2, 0
	v_or_b32_e32 v9, 0x10000, v3
	v_cmp_eq_u32_sdwa vcc, v3, v2 src0_sel:WORD_0 src1_sel:DWORD
	v_cndmask_b32_e32 v2, v9, v3, vcc
; %bb.71:
	s_or_b64 exec, exec, s[16:17]
	v_mov_b32_e32 v3, 0xcc
	v_lshl_or_b32 v3, v40, 2, v3
	v_add_co_u32_e32 v10, vcc, v5, v3
	v_addc_co_u32_e32 v11, vcc, 0, v6, vcc
	global_load_dword v3, v[10:11], off
	s_mov_b32 s16, 0x7f800000
	s_waitcnt vmcnt(0)
	v_mul_f32_e32 v3, v4, v3
	v_and_b32_e32 v4, 0x7f800000, v3
	v_cmp_ne_u32_e32 vcc, s16, v4
                                        ; implicit-def: $vgpr4
	s_and_saveexec_b64 s[16:17], vcc
	s_xor_b64 s[16:17], exec, s[16:17]
; %bb.72:
	v_bfe_u32 v4, v3, 16, 1
	s_movk_i32 s18, 0x7fff
	v_add3_u32 v4, v3, v4, s18
                                        ; implicit-def: $vgpr3
; %bb.73:
	s_andn2_saveexec_b64 s[16:17], s[16:17]
; %bb.74:
	v_mov_b32_e32 v4, 0
	v_or_b32_e32 v5, 0x10000, v3
	v_cmp_eq_u32_sdwa vcc, v3, v4 src0_sel:WORD_0 src1_sel:DWORD
	v_cndmask_b32_e32 v4, v5, v3, vcc
; %bb.75:
	s_or_b64 exec, exec, s[16:17]
	s_mov_b32 s16, 0x7060302
	v_perm_b32 v28, v8, v7, s16
	v_perm_b32 v29, v4, v2, s16
.LBB25_76:
	s_or_b64 exec, exec, s[14:15]
	s_sub_i32 s14, s58, s59
	s_max_i32 s14, s14, -1
	s_add_i32 s16, s14, 1
	s_mov_b32 s44, 0
	s_cmp_lg_u32 s28, 0
	s_mov_b32 s45, s44
	s_cselect_b64 s[50:51], -1, 0
	s_mov_b32 s46, s44
	s_mov_b32 s47, s44
	v_pk_mov_b32 v[10:11], s[44:45], s[44:45] op_sel:[0,1]
	s_and_b64 s[14:15], s[50:51], exec
	v_pk_mov_b32 v[12:13], s[46:47], s[46:47] op_sel:[0,1]
	s_cselect_b32 s61, s16, 0
	s_min_u32 s60, s39, 16
	v_pk_mov_b32 v[2:3], v[10:11], v[10:11] op_sel:[0,1]
	v_pk_mov_b32 v[6:7], v[10:11], v[10:11] op_sel:[0,1]
	;; [unrolled: 1-line block ×3, first 2 shown]
	s_cmp_le_i32 s61, s58
	v_cmp_gt_u32_e64 s[30:31], s39, v39
	v_cmp_eq_u32_e64 s[28:29], 0, v38
	v_or_b32_e32 v44, 1, v39
	v_or_b32_e32 v43, 2, v39
	v_or_b32_e32 v42, 3, v40
	v_pk_mov_b32 v[4:5], v[12:13], v[12:13] op_sel:[0,1]
	v_pk_mov_b32 v[8:9], v[12:13], v[12:13] op_sel:[0,1]
	;; [unrolled: 1-line block ×3, first 2 shown]
	s_cbranch_scc0 .LBB25_241
; %bb.77:
	s_load_dword s4, s[4:5], 0x80
	s_mul_i32 s16, s59, s38
	s_mul_hi_i32 s15, s59, s38
	s_mul_hi_u32 s17, s16, s7
	s_mul_i32 s15, s15, s7
	s_waitcnt lgkmcnt(0)
	s_add_i32 s5, s4, -1
	s_cmp_lt_u32 s5, 16
	s_cselect_b32 s62, s4, 16
	s_add_i32 s64, s59, -1
	s_add_i32 s63, s58, 1
	s_and_b32 s4, s59, s64
	s_cmp_lg_u32 s4, 0
	s_cselect_b64 s[46:47], -1, 0
	s_ashr_i32 s14, s7, 31
	s_mul_i32 s14, s16, s14
	s_add_i32 s14, s17, s14
	v_mbcnt_lo_u32_b32 v2, -1, 0
	s_ashr_i32 s5, s38, 31
	s_add_i32 s14, s14, s15
	s_mul_i32 s16, s16, s7
	v_mbcnt_hi_u32_b32 v2, -1, v2
	s_add_u32 s12, s16, s12
	v_lshlrev_b32_e32 v4, 2, v2
	v_lshlrev_b32_e32 v5, 5, v38
	s_addc_u32 s13, s14, s13
	v_and_b32_e32 v47, 0x1c0, v4
	v_lshlrev_b32_e32 v4, 1, v39
	v_or_b32_e32 v6, 0x800, v5
	v_lshlrev_b32_e32 v7, 1, v42
	s_lshl_b64 s[12:13], s[12:13], 2
	v_or_b32_e32 v48, v6, v4
	v_add_u32_e32 v49, v6, v7
	v_lshlrev_b32_e32 v6, 5, v0
	s_add_u32 s8, s8, s12
	v_or_b32_e32 v8, 0x600, v6
	s_addc_u32 s9, s9, s13
	v_add_u32_e32 v8, 0x800, v8
	s_add_u32 s10, s10, s12
	v_or_b32_e32 v50, v8, v4
	v_add_u32_e32 v51, v8, v7
	v_mov_b32_e32 v8, s9
	v_add_co_u32_e32 v52, vcc, s8, v1
	s_addc_u32 s11, s11, s13
	v_addc_co_u32_e32 v53, vcc, 0, v8, vcc
	v_mov_b32_e32 v8, s11
	v_add_co_u32_e32 v54, vcc, s10, v1
	v_addc_co_u32_e32 v55, vcc, 0, v8, vcc
	v_lshlrev_b32_e32 v8, 1, v40
	v_and_b32_e32 v3, 15, v2
	v_lshlrev_b32_e32 v1, 7, v38
	v_or_b32_e32 v9, 38, v8
	v_add_u32_e32 v58, v1, v9
	v_or_b32_e32 v9, 0x46, v8
	v_or_b32_e32 v8, 0x66, v8
	v_cmp_gt_u32_e32 vcc, 8, v3
	v_or_b32_e32 v56, v1, v4
	v_add_u32_e32 v57, v1, v7
	v_add_u32_e32 v59, v1, v9
	;; [unrolled: 1-line block ×3, first 2 shown]
	v_cndmask_b32_e64 v1, 0, 1, vcc
	v_lshlrev_b32_e32 v1, 3, v1
	v_cmp_gt_u32_e32 vcc, 12, v3
	v_add_lshl_u32 v61, v1, v2, 2
	v_cndmask_b32_e64 v1, 0, 1, vcc
	v_lshlrev_b32_e32 v1, 2, v1
	v_cmp_gt_u32_e32 vcc, 14, v3
	v_add_lshl_u32 v62, v1, v2, 2
	v_cndmask_b32_e64 v1, 0, 1, vcc
	v_lshlrev_b32_e32 v1, 1, v1
	v_cmp_ne_u32_e32 vcc, 15, v3
	s_mov_b32 s4, s38
	v_add_lshl_u32 v63, v1, v2, 2
	v_addc_co_u32_e32 v1, vcc, 0, v2, vcc
	s_lshl_b64 s[54:55], s[4:5], 2
	s_movk_i32 s4, 0x100
	v_lshlrev_b32_e32 v64, 2, v1
	v_lshlrev_b32_e32 v1, 2, v42
	v_cmp_gt_u32_e64 s[8:9], s4, v0
	v_add_u32_e32 v67, 0x1200, v1
	v_add_u32_e32 v68, 0x1280, v1
	;; [unrolled: 1-line block ×5, first 2 shown]
	v_lshlrev_b32_e32 v1, 1, v38
	v_lshlrev_b32_e32 v2, 5, v39
	s_movk_i32 s4, 0x1000
	v_or3_b32 v73, v2, v1, s4
	v_lshl_or_b32 v1, v42, 5, v1
	s_abs_i32 s38, s59
	v_add_u32_e32 v74, 0x1000, v1
	v_cvt_f32_u32_e32 v1, s38
	v_or_b32_e32 v2, 0x1000, v5
	v_or_b32_e32 v75, v2, v4
	v_add_u32_e32 v76, v2, v7
	v_rcp_iflag_f32_e32 v2, v1
	s_sub_i32 s4, 0, s38
	s_ashr_i32 s7, s6, 31
	s_lshl_b64 s[52:53], s[6:7], 8
	v_mul_f32_e32 v2, 0x4f7ffffe, v2
	v_cvt_u32_f32_e32 v2, v2
	v_mov_b32_e32 v45, 0x12c0
	v_mov_b32_e32 v79, 0
	v_lshl_or_b32 v46, v38, 2, v45
	v_mul_lo_u32 v3, s4, v2
	v_mul_hi_u32 v3, v2, v3
	v_cmp_le_u32_e64 s[10:11], s39, v39
	v_cmp_le_u32_e64 s[12:13], s60, v44
	v_cmp_gt_u32_e64 s[14:15], s60, v44
	v_cmp_le_u32_e64 s[16:17], s60, v43
	v_cmp_gt_u32_e64 s[18:19], s60, v43
	;; [unrolled: 2-line block ×3, first 2 shown]
	v_or_b32_e32 v65, 0x1200, v41
	v_or_b32_e32 v66, 0x1280, v41
	v_cmp_gt_u32_e64 s[24:25], 64, v0
	v_or_b32_e32 v69, 0x1300, v41
	v_or_b32_e32 v1, 64, v0
	s_mov_b32 s65, s54
	s_mov_b32 s66, s55
	;; [unrolled: 1-line block ×4, first 2 shown]
	v_add_u32_e32 v77, v2, v3
	s_sub_i32 s69, s63, s61
	v_add_u32_e32 v78, 0x800, v6
	s_mov_b32 s70, 0x7f800000
	s_movk_i32 s71, 0x7fff
	s_mov_b32 s72, 0xffff
	s_mov_b32 s73, 0x7060302
	;; [unrolled: 1-line block ×6, first 2 shown]
	v_mov_b32_e32 v10, 0
	v_mov_b32_e32 v11, v79
	;; [unrolled: 1-line block ×16, first 2 shown]
	v_or_b32_e32 v80, 0x1340, v41
	v_or_b32_e32 v81, 0x1240, v41
	v_lshlrev_b32_e32 v82, 1, v0
	v_mov_b32_e32 v83, 0xff800000
	v_mov_b32_e32 v31, 0
	s_branch .LBB25_79
.LBB25_78:                              ;   in Loop: Header=BB25_79 Depth=1
	s_or_b64 exec, exec, s[4:5]
	v_mul_f32_e32 v10, v10, v84
	v_mul_f32_e32 v11, v11, v85
	;; [unrolled: 1-line block ×16, first 2 shown]
	v_mfma_f32_16x16x16bf16_1k v[10:13], v[18:19], v[20:21], v[10:13]
	s_add_i32 s77, s77, s62
	s_add_i32 s76, s76, 1
	s_sub_i32 s69, s69, s62
	s_cmp_gt_i32 s77, s58
	s_barrier
	v_mfma_f32_16x16x16bf16_1k v[2:5], v[18:19], v[32:33], v[2:5]
	v_mfma_f32_16x16x16bf16_1k v[6:9], v[18:19], v[34:35], v[6:9]
	;; [unrolled: 1-line block ×3, first 2 shown]
	s_cbranch_scc1 .LBB25_241
.LBB25_79:                              ; =>This Loop Header: Depth=1
                                        ;     Child Loop BB25_86 Depth 2
                                        ;     Child Loop BB25_96 Depth 2
	s_sub_i32 s4, s63, s77
	s_min_i32 s78, s4, s62
	v_cmp_le_i32_e64 s[26:27], s78, v38
	v_cmp_gt_i32_e64 s[4:5], s78, v38
	s_mov_b64 s[34:35], 0
                                        ; implicit-def: $vgpr18
	s_and_saveexec_b64 s[6:7], s[4:5]
	s_xor_b64 s[6:7], exec, s[6:7]
	s_cbranch_execnz .LBB25_88
; %bb.80:                               ;   in Loop: Header=BB25_79 Depth=1
	s_andn2_saveexec_b64 s[6:7], s[6:7]
	s_cbranch_execnz .LBB25_240
.LBB25_81:                              ;   in Loop: Header=BB25_79 Depth=1
	s_or_b64 exec, exec, s[6:7]
	s_and_saveexec_b64 s[6:7], s[34:35]
	s_cbranch_execz .LBB25_83
.LBB25_82:                              ;   in Loop: Header=BB25_79 Depth=1
	ds_write_b32 v46, v18
.LBB25_83:                              ;   in Loop: Header=BB25_79 Depth=1
	s_or_b64 exec, exec, s[6:7]
	s_min_i32 s79, s78, 16
	s_lshl_b32 s45, s79, 6
	v_cmp_gt_i32_e32 vcc, s45, v0
	s_waitcnt lgkmcnt(0)
	s_barrier
	s_and_saveexec_b64 s[56:57], vcc
	s_cbranch_execz .LBB25_104
; %bb.84:                               ;   in Loop: Header=BB25_79 Depth=1
	s_mul_i32 s6, s62, s76
	s_add_i32 s6, s61, s6
	s_sub_i32 s6, s63, s6
	v_mov_b32_e32 v18, s6
	v_min3_i32 v18, s62, v18, 16
	v_readfirstlane_b32 s6, v18
	s_add_i32 s6, s6, -1
	s_and_b32 s80, s6, 0x3ffffff
	s_cmp_lg_u32 s80, 0
	s_cbranch_scc0 .LBB25_93
; %bb.85:                               ;   in Loop: Header=BB25_79 Depth=1
	v_mov_b32_e32 v18, s69
	v_min3_i32 v18, s62, v18, 16
	v_readfirstlane_b32 s6, v18
	s_add_i32 s6, s6, -1
	s_and_b32 s6, s6, 0x3ffffff
	s_add_i32 s6, s6, 1
	s_and_b32 s81, s6, 0x7fffffe
	v_pk_mov_b32 v[18:19], v[0:1], v[0:1] op_sel:[0,1]
.LBB25_86:                              ;   Parent Loop BB25_79 Depth=1
                                        ; =>  This Inner Loop Header: Depth=2
	v_lshrrev_b32_e32 v30, 6, v18
	v_lshl_add_u32 v34, v30, 2, v45
	ds_read2_b32 v[34:35], v34 offset1:1
	v_mov_b32_e32 v20, s67
	v_mov_b32_e32 v21, s68
	;; [unrolled: 1-line block ×4, first 2 shown]
	s_waitcnt lgkmcnt(0)
	v_ashrrev_i32_e32 v37, 31, v35
	v_ashrrev_i32_e32 v36, 31, v34
	v_mad_u64_u32 v[20:21], s[6:7], s65, v35, v[20:21]
	v_mul_lo_u32 v35, s66, v35
	v_mul_lo_u32 v37, s65, v37
	v_mad_u64_u32 v[32:33], s[6:7], s54, v34, v[32:33]
	v_mul_lo_u32 v84, s55, v34
	v_mul_lo_u32 v85, s54, v36
	v_add_co_u32_e32 v34, vcc, v52, v20
	v_add_co_u32_e64 v20, s[34:35], v54, v20
	v_add3_u32 v21, v35, v21, v37
	v_add_co_u32_e64 v36, s[6:7], v54, v32
	v_add_co_u32_e64 v32, s[36:37], v52, v32
	v_add3_u32 v37, v84, v33, v85
	v_addc_co_u32_e32 v35, vcc, v53, v21, vcc
	v_addc_co_u32_e64 v21, vcc, v55, v21, s[34:35]
	v_addc_co_u32_e64 v33, s[36:37], v53, v37, s[36:37]
	v_addc_co_u32_e64 v37, vcc, v55, v37, s[6:7]
	global_load_dword v34, v[34:35], off
	s_nop 0
	global_load_dword v35, v[36:37], off
	s_nop 0
	;; [unrolled: 2-line block ×3, first 2 shown]
	global_load_dword v21, v[32:33], off
	v_lshlrev_b32_e32 v32, 1, v19
	s_add_i32 s81, s81, -2
	v_add_u32_e32 v19, 0x80, v19
	v_add_u32_e32 v18, 0x80, v18
	v_lshl_add_u32 v33, v30, 7, v82
	v_and_b32_e32 v32, 0xffffff80, v32
	v_lshlrev_b32_e32 v30, 1, v30
	s_cmp_lg_u32 s81, 0
	v_add_u32_e32 v32, v32, v82
	v_lshl_add_u32 v30, v0, 5, v30
	s_waitcnt vmcnt(3)
	v_bfe_u32 v84, v34, 16, 1
	v_or_b32_e32 v86, 0x10000, v34
	v_cmp_eq_u32_sdwa vcc, v34, v79 src0_sel:WORD_0 src1_sel:DWORD
	s_waitcnt vmcnt(0)
	v_and_b32_e32 v37, 0x7f800000, v21
	v_bfe_u32 v85, v21, 16, 1
	v_or_b32_e32 v87, 0x10000, v21
	v_and_b32_e32 v88, 0x7f800000, v35
	v_and_b32_e32 v89, 0x7f800000, v20
	v_bfe_u32 v90, v35, 16, 1
	v_bfe_u32 v91, v20, 16, 1
	v_or_b32_e32 v92, 0x10000, v35
	v_cmp_eq_u32_sdwa s[6:7], v35, v79 src0_sel:WORD_0 src1_sel:DWORD
	v_or_b32_e32 v93, 0x10000, v20
	v_cmp_eq_u32_sdwa s[34:35], v20, v79 src0_sel:WORD_0 src1_sel:DWORD
	v_cmp_eq_u32_sdwa s[36:37], v21, v79 src0_sel:WORD_0 src1_sel:DWORD
	v_and_b32_e32 v36, 0x7f800000, v34
	v_add3_u32 v85, v21, v85, s71
	v_cndmask_b32_e64 v21, v87, v21, s[36:37]
	v_cmp_eq_u32_e64 s[36:37], s70, v37
	v_add3_u32 v37, v34, v84, s71
	v_cndmask_b32_e32 v34, v86, v34, vcc
	v_add3_u32 v84, v20, v91, s71
	v_cndmask_b32_e64 v20, v93, v20, s[34:35]
	v_cmp_eq_u32_e32 vcc, s70, v89
	v_add3_u32 v86, v35, v90, s71
	v_cndmask_b32_e64 v35, v92, v35, s[6:7]
	v_cmp_eq_u32_e64 s[6:7], s70, v88
	v_cmp_eq_u32_e64 s[34:35], s70, v36
	v_cndmask_b32_e64 v21, v85, v21, s[36:37]
	v_cndmask_b32_e64 v35, v86, v35, s[6:7]
	v_cndmask_b32_e32 v20, v84, v20, vcc
	v_cndmask_b32_e64 v34, v37, v34, s[34:35]
	v_perm_b32 v20, v20, v35, s73
	ds_write_b16_d16_hi v33, v21
	ds_write_b16_d16_hi v32, v34
	ds_write_b32 v30, v20 offset:2048
	s_cbranch_scc1 .LBB25_86
; %bb.87:                               ;   in Loop: Header=BB25_79 Depth=1
	s_add_i32 s80, s80, 1
	s_and_b32 s6, s80, 0x7fffffe
	s_cmp_lg_u32 s80, s6
	v_lshl_or_b32 v18, s6, 6, v0
	s_cselect_b64 s[6:7], -1, 0
	s_and_b64 vcc, exec, s[6:7]
	s_cbranch_vccnz .LBB25_94
	s_branch .LBB25_104
.LBB25_88:                              ;   in Loop: Header=BB25_79 Depth=1
	s_andn2_b64 vcc, exec, s[50:51]
	v_add_u32_e32 v18, s77, v38
	s_cbranch_vccnz .LBB25_239
; %bb.89:                               ;   in Loop: Header=BB25_79 Depth=1
	s_and_b64 vcc, exec, s[46:47]
	s_cbranch_vccz .LBB25_236
; %bb.90:                               ;   in Loop: Header=BB25_79 Depth=1
	v_cmp_le_i32_e32 vcc, s59, v18
	v_mov_b32_e32 v19, v18
	s_and_saveexec_b64 s[34:35], vcc
	s_cbranch_execz .LBB25_92
; %bb.91:                               ;   in Loop: Header=BB25_79 Depth=1
	v_sub_u32_e32 v20, 0, v18
	v_max_i32_e32 v20, v18, v20
	v_mul_hi_u32 v21, v20, v77
	v_mul_lo_u32 v21, v21, s38
	v_sub_u32_e32 v20, v20, v21
	v_subrev_u32_e32 v21, s38, v20
	v_cmp_le_u32_e32 vcc, s38, v20
	v_cndmask_b32_e32 v20, v20, v21, vcc
	v_subrev_u32_e32 v21, s38, v20
	v_cmp_le_u32_e32 vcc, s38, v20
	v_ashrrev_i32_e32 v19, 31, v18
	v_cndmask_b32_e32 v20, v20, v21, vcc
	v_xor_b32_e32 v20, v20, v19
	v_sub_u32_e32 v19, v20, v19
.LBB25_92:                              ;   in Loop: Header=BB25_79 Depth=1
	s_or_b64 exec, exec, s[34:35]
	s_cbranch_execz .LBB25_237
	s_branch .LBB25_238
.LBB25_93:                              ;   in Loop: Header=BB25_79 Depth=1
	v_mov_b32_e32 v18, v0
	s_cbranch_execz .LBB25_104
.LBB25_94:                              ;   in Loop: Header=BB25_79 Depth=1
	v_lshrrev_b32_e32 v21, 6, v18
	v_lshl_add_u32 v19, v21, 1, v78
	v_lshl_add_u32 v20, v21, 7, v82
	;; [unrolled: 1-line block ×3, first 2 shown]
	s_mov_b64 s[6:7], 0
	s_branch .LBB25_96
.LBB25_95:                              ;   in Loop: Header=BB25_96 Depth=2
	s_or_b64 exec, exec, s[34:35]
	v_add_u32_e32 v18, 64, v18
	v_cmp_le_i32_e32 vcc, s45, v18
	ds_write_b16_d16_hi v20, v32
	ds_write_b16_d16_hi v19, v33
	v_add_u32_e32 v19, 2, v19
	v_add_u32_e32 v20, 0x80, v20
	s_or_b64 s[6:7], vcc, s[6:7]
	v_add_u32_e32 v21, 4, v21
	s_andn2_b64 exec, exec, s[6:7]
	s_cbranch_execz .LBB25_104
.LBB25_96:                              ;   Parent Loop BB25_79 Depth=1
                                        ; =>  This Inner Loop Header: Depth=2
	ds_read_b32 v30, v21
	v_pk_mov_b32 v[32:33], s[52:53], s[52:53] op_sel:[0,1]
	s_waitcnt lgkmcnt(0)
	v_ashrrev_i32_e32 v34, 31, v30
	v_mad_u64_u32 v[32:33], s[34:35], s54, v30, v[32:33]
	v_mul_lo_u32 v30, s55, v30
	v_mul_lo_u32 v34, s54, v34
	v_add3_u32 v30, v30, v33, v34
	v_add_co_u32_e32 v34, vcc, v52, v32
	v_addc_co_u32_e32 v35, vcc, v53, v30, vcc
	global_load_dword v33, v[34:35], off
	v_add_co_u32_e32 v34, vcc, v54, v32
	v_addc_co_u32_e32 v35, vcc, v55, v30, vcc
	global_load_dword v30, v[34:35], off
	s_waitcnt vmcnt(1)
	v_and_b32_e32 v32, 0x7f800000, v33
	v_cmp_ne_u32_e32 vcc, s70, v32
                                        ; implicit-def: $vgpr32
	s_and_saveexec_b64 s[34:35], vcc
	s_xor_b64 s[34:35], exec, s[34:35]
; %bb.97:                               ;   in Loop: Header=BB25_96 Depth=2
	v_bfe_u32 v32, v33, 16, 1
	v_add3_u32 v32, v33, v32, s71
                                        ; implicit-def: $vgpr33
; %bb.98:                               ;   in Loop: Header=BB25_96 Depth=2
	s_andn2_saveexec_b64 s[34:35], s[34:35]
; %bb.99:                               ;   in Loop: Header=BB25_96 Depth=2
	v_or_b32_e32 v32, 0x10000, v33
	v_cmp_eq_u32_sdwa vcc, v33, v79 src0_sel:WORD_0 src1_sel:DWORD
	v_cndmask_b32_e32 v32, v32, v33, vcc
; %bb.100:                              ;   in Loop: Header=BB25_96 Depth=2
	s_or_b64 exec, exec, s[34:35]
	s_waitcnt vmcnt(0)
	v_and_b32_e32 v33, 0x7f800000, v30
	v_cmp_ne_u32_e32 vcc, s70, v33
                                        ; implicit-def: $vgpr33
	s_and_saveexec_b64 s[34:35], vcc
	s_xor_b64 s[34:35], exec, s[34:35]
; %bb.101:                              ;   in Loop: Header=BB25_96 Depth=2
	v_bfe_u32 v33, v30, 16, 1
	v_add3_u32 v33, v30, v33, s71
                                        ; implicit-def: $vgpr30
; %bb.102:                              ;   in Loop: Header=BB25_96 Depth=2
	s_andn2_saveexec_b64 s[34:35], s[34:35]
	s_cbranch_execz .LBB25_95
; %bb.103:                              ;   in Loop: Header=BB25_96 Depth=2
	v_or_b32_e32 v33, 0x10000, v30
	v_cmp_eq_u32_sdwa vcc, v30, v79 src0_sel:WORD_0 src1_sel:DWORD
	v_cndmask_b32_e32 v33, v33, v30, vcc
	s_branch .LBB25_95
.LBB25_104:                             ;   in Loop: Header=BB25_79 Depth=1
	s_or_b64 exec, exec, s[56:57]
	v_mov_b32_e32 v34, 0
	v_mov_b32_e32 v18, 0
	;; [unrolled: 1-line block ×3, first 2 shown]
	s_waitcnt lgkmcnt(0)
	s_barrier
	s_and_saveexec_b64 s[6:7], s[4:5]
	s_cbranch_execz .LBB25_108
; %bb.105:                              ;   in Loop: Header=BB25_79 Depth=1
	ds_read_u16 v19, v56 offset:4
	ds_read_b32 v18, v56
	s_waitcnt lgkmcnt(1)
	v_and_b32_e32 v19, 0xffff, v19
	s_and_saveexec_b64 s[34:35], s[8:9]
	s_cbranch_execz .LBB25_107
; %bb.106:                              ;   in Loop: Header=BB25_79 Depth=1
	ds_read_u16 v20, v57
	s_waitcnt lgkmcnt(0)
	v_perm_b32 v19, v20, v19, s74
.LBB25_107:                             ;   in Loop: Header=BB25_79 Depth=1
	s_or_b64 exec, exec, s[34:35]
.LBB25_108:                             ;   in Loop: Header=BB25_79 Depth=1
	s_or_b64 exec, exec, s[6:7]
	s_waitcnt lgkmcnt(0)
	v_mfma_f32_16x16x16bf16_1k v[18:21], v[22:23], v[18:19], 0
	v_mov_b32_e32 v35, 0
	s_and_saveexec_b64 s[6:7], s[4:5]
	s_cbranch_execz .LBB25_112
; %bb.109:                              ;   in Loop: Header=BB25_79 Depth=1
	ds_read_u16 v30, v56 offset:36
	ds_read_b32 v34, v56 offset:32
	s_waitcnt lgkmcnt(1)
	v_and_b32_e32 v35, 0xffff, v30
	s_and_saveexec_b64 s[34:35], s[8:9]
	s_cbranch_execz .LBB25_111
; %bb.110:                              ;   in Loop: Header=BB25_79 Depth=1
	ds_read_u16 v30, v58
	s_waitcnt lgkmcnt(0)
	v_perm_b32 v35, v30, v35, s74
.LBB25_111:                             ;   in Loop: Header=BB25_79 Depth=1
	s_or_b64 exec, exec, s[34:35]
.LBB25_112:                             ;   in Loop: Header=BB25_79 Depth=1
	s_or_b64 exec, exec, s[6:7]
	s_waitcnt lgkmcnt(0)
	v_mfma_f32_16x16x16bf16_1k v[18:21], v[24:25], v[34:35], v[18:21]
	v_mov_b32_e32 v32, 0
	v_mov_b32_e32 v36, 0
	;; [unrolled: 1-line block ×3, first 2 shown]
	s_and_saveexec_b64 s[6:7], s[4:5]
	s_cbranch_execz .LBB25_116
; %bb.113:                              ;   in Loop: Header=BB25_79 Depth=1
	ds_read_u16 v30, v56 offset:68
	ds_read_b32 v36, v56 offset:64
	s_waitcnt lgkmcnt(1)
	v_and_b32_e32 v37, 0xffff, v30
	s_and_saveexec_b64 s[34:35], s[8:9]
	s_cbranch_execz .LBB25_115
; %bb.114:                              ;   in Loop: Header=BB25_79 Depth=1
	ds_read_u16 v30, v59
	s_waitcnt lgkmcnt(0)
	v_perm_b32 v37, v30, v37, s74
.LBB25_115:                             ;   in Loop: Header=BB25_79 Depth=1
	s_or_b64 exec, exec, s[34:35]
.LBB25_116:                             ;   in Loop: Header=BB25_79 Depth=1
	s_or_b64 exec, exec, s[6:7]
	s_waitcnt lgkmcnt(0)
	v_mfma_f32_16x16x16bf16_1k v[18:21], v[26:27], v[36:37], v[18:21]
	s_mov_b64 s[34:35], -1
	s_mov_b64 s[36:37], -1
	v_mov_b32_e32 v33, 0
	s_and_saveexec_b64 s[6:7], s[4:5]
	s_cbranch_execz .LBB25_120
; %bb.117:                              ;   in Loop: Header=BB25_79 Depth=1
	ds_read_u16 v30, v56 offset:100
	ds_read_b32 v32, v56 offset:96
	s_waitcnt lgkmcnt(1)
	v_and_b32_e32 v33, 0xffff, v30
	s_and_saveexec_b64 s[34:35], s[8:9]
	s_cbranch_execz .LBB25_119
; %bb.118:                              ;   in Loop: Header=BB25_79 Depth=1
	ds_read_u16 v30, v60
	s_waitcnt lgkmcnt(0)
	v_perm_b32 v33, v30, v33, s74
.LBB25_119:                             ;   in Loop: Header=BB25_79 Depth=1
	s_or_b64 exec, exec, s[34:35]
	s_orn2_b64 s[36:37], s[16:17], exec
	s_orn2_b64 s[34:35], s[12:13], exec
.LBB25_120:                             ;   in Loop: Header=BB25_79 Depth=1
	s_or_b64 exec, exec, s[6:7]
	s_waitcnt lgkmcnt(0)
	v_mfma_f32_16x16x16bf16_1k v[18:21], v[28:29], v[32:33], v[18:21]
	s_or_b64 s[6:7], s[26:27], s[10:11]
	s_nop 7
	s_nop 1
	v_cndmask_b32_e64 v32, v18, v83, s[6:7]
	v_cndmask_b32_e64 v18, v20, v83, s[36:37]
	ds_bpermute_b32 v20, v61, v32
	v_cndmask_b32_e64 v19, v19, v83, s[34:35]
	s_or_b64 s[34:35], s[26:27], s[20:21]
	v_cndmask_b32_e64 v30, v21, v83, s[34:35]
	v_max_f32_e32 v21, v32, v32
	s_waitcnt lgkmcnt(0)
	v_max_f32_e32 v20, v20, v20
	v_max_f32_e32 v20, v21, v20
	ds_bpermute_b32 v21, v62, v20
	ds_bpermute_b32 v33, v61, v19
	v_max_f32_e32 v34, v19, v19
	ds_bpermute_b32 v35, v61, v18
	ds_bpermute_b32 v37, v61, v30
	s_waitcnt lgkmcnt(3)
	v_max_f32_e32 v21, v21, v21
	v_max_f32_e32 v20, v20, v21
	ds_bpermute_b32 v21, v63, v20
	s_waitcnt lgkmcnt(3)
	v_max_f32_e32 v33, v33, v33
	v_max_f32_e32 v33, v34, v33
	ds_bpermute_b32 v34, v62, v33
	v_max_f32_e32 v36, v18, v18
	s_waitcnt lgkmcnt(1)
	v_max_f32_e32 v21, v21, v21
	v_max_f32_e32 v20, v20, v21
	ds_bpermute_b32 v21, v64, v20
	s_waitcnt lgkmcnt(1)
	v_max_f32_e32 v34, v34, v34
	v_max_f32_e32 v35, v35, v35
	;; [unrolled: 1-line block ×4, first 2 shown]
	s_waitcnt lgkmcnt(0)
	v_max_f32_e32 v21, v21, v21
	ds_bpermute_b32 v34, v63, v33
	v_max_f32_e32 v20, v20, v21
	v_max_f32_e32 v21, v30, v30
	;; [unrolled: 1-line block ×3, first 2 shown]
	ds_bpermute_b32 v36, v62, v35
	v_max_f32_e32 v21, v21, v37
	ds_bpermute_b32 v37, v62, v21
	s_waitcnt lgkmcnt(2)
	v_max_f32_e32 v34, v34, v34
	v_max_f32_e32 v33, v33, v34
	s_waitcnt lgkmcnt(1)
	v_max_f32_e32 v36, v36, v36
	ds_bpermute_b32 v34, v64, v33
	v_max_f32_e32 v35, v35, v36
	s_waitcnt lgkmcnt(1)
	v_max_f32_e32 v37, v37, v37
	ds_bpermute_b32 v36, v63, v35
	v_max_f32_e32 v21, v21, v37
	ds_bpermute_b32 v37, v63, v21
	s_waitcnt lgkmcnt(2)
	v_max_f32_e32 v34, v34, v34
	v_max_f32_e32 v33, v33, v34
	s_waitcnt lgkmcnt(1)
	v_max_f32_e32 v34, v36, v36
	v_max_f32_e32 v35, v35, v34
	s_waitcnt lgkmcnt(0)
	v_max_f32_e32 v34, v37, v37
	ds_bpermute_b32 v36, v64, v35
	v_max_f32_e32 v21, v21, v34
	ds_bpermute_b32 v37, v64, v21
	ds_bpermute_b32 v34, v47, v33
	;; [unrolled: 1-line block ×3, first 2 shown]
	s_waitcnt lgkmcnt(3)
	v_max_f32_e32 v33, v36, v36
	v_max_f32_e32 v33, v35, v33
	s_waitcnt lgkmcnt(2)
	v_max_f32_e32 v35, v37, v37
	v_max_f32_e32 v21, v21, v35
	ds_bpermute_b32 v33, v47, v33
	ds_bpermute_b32 v21, v47, v21
	s_and_saveexec_b64 s[36:37], s[28:29]
	s_cbranch_execz .LBB25_123
; %bb.121:                              ;   in Loop: Header=BB25_79 Depth=1
	ds_read_b96 v[84:86], v66
	s_waitcnt lgkmcnt(4)
	v_max_f32_e32 v34, v34, v34
	s_waitcnt lgkmcnt(3)
	v_max_f32_e32 v20, v20, v20
	;; [unrolled: 2-line block ×3, first 2 shown]
	v_max_f32_e32 v36, v84, v84
	v_max_f32_e32 v35, v35, v34
	;; [unrolled: 1-line block ×6, first 2 shown]
	ds_write_b96 v65, v[84:86]
	ds_write_b96 v66, v[34:36]
	s_and_b64 exec, exec, s[24:25]
	s_cbranch_execz .LBB25_123
; %bb.122:                              ;   in Loop: Header=BB25_79 Depth=1
	ds_read_b32 v20, v68
	v_max_f32_e32 v21, v21, v21
	s_waitcnt lgkmcnt(0)
	ds_write_b32 v67, v20
	v_max_f32_e32 v20, v20, v20
	v_max_f32_e32 v20, v20, v21
	ds_write_b32 v68, v20
.LBB25_123:                             ;   in Loop: Header=BB25_79 Depth=1
	s_or_b64 exec, exec, s[36:37]
	s_waitcnt lgkmcnt(2)
	v_mov_b32_e32 v20, 0
	s_waitcnt lgkmcnt(0)
	v_mov_b32_e32 v21, 0
	s_barrier
	s_and_saveexec_b64 s[36:37], s[4:5]
	s_cbranch_execz .LBB25_125
; %bb.124:                              ;   in Loop: Header=BB25_79 Depth=1
	ds_read_b32 v21, v66
	s_waitcnt lgkmcnt(0)
	v_sub_f32_e32 v32, v32, v21
	v_mul_f32_e32 v32, 0x3fb8aa3b, v32
	v_exp_f32_e32 v32, v32
	v_cmp_lg_f32_e32 vcc, s75, v21
	s_and_b64 vcc, s[30:31], vcc
	v_cndmask_b32_e32 v21, 0, v32, vcc
.LBB25_125:                             ;   in Loop: Header=BB25_79 Depth=1
	s_or_b64 exec, exec, s[36:37]
	ds_bpermute_b32 v32, v61, v21
	s_waitcnt lgkmcnt(0)
	v_add_f32_e32 v32, v21, v32
	ds_bpermute_b32 v33, v62, v32
	s_waitcnt lgkmcnt(0)
	v_add_f32_e32 v32, v32, v33
	;; [unrolled: 3-line block ×4, first 2 shown]
	ds_bpermute_b32 v34, v47, v32
	s_and_saveexec_b64 s[36:37], s[4:5]
	s_cbranch_execz .LBB25_127
; %bb.126:                              ;   in Loop: Header=BB25_79 Depth=1
	ds_read_b32 v20, v66 offset:4
	s_waitcnt lgkmcnt(0)
	v_sub_f32_e32 v19, v19, v20
	v_mul_f32_e32 v19, 0x3fb8aa3b, v19
	v_exp_f32_e32 v19, v19
	v_cmp_lg_f32_e32 vcc, s75, v20
	s_and_b64 vcc, s[14:15], vcc
	v_cndmask_b32_e32 v20, 0, v19, vcc
.LBB25_127:                             ;   in Loop: Header=BB25_79 Depth=1
	s_or_b64 exec, exec, s[36:37]
	ds_bpermute_b32 v19, v61, v20
	s_waitcnt lgkmcnt(0)
	v_add_f32_e32 v19, v20, v19
	ds_bpermute_b32 v32, v62, v19
	s_waitcnt lgkmcnt(0)
	v_add_f32_e32 v19, v19, v32
	ds_bpermute_b32 v32, v63, v19
	s_waitcnt lgkmcnt(0)
	v_add_f32_e32 v19, v19, v32
	ds_bpermute_b32 v32, v64, v19
	s_waitcnt lgkmcnt(0)
	v_add_f32_e32 v19, v19, v32
	ds_bpermute_b32 v33, v47, v19
	v_mov_b32_e32 v19, 0
	s_and_saveexec_b64 s[36:37], s[4:5]
	s_cbranch_execz .LBB25_129
; %bb.128:                              ;   in Loop: Header=BB25_79 Depth=1
	ds_read_b32 v19, v66 offset:8
	s_waitcnt lgkmcnt(0)
	v_sub_f32_e32 v18, v18, v19
	v_mul_f32_e32 v18, 0x3fb8aa3b, v18
	v_exp_f32_e32 v18, v18
	v_cmp_lg_f32_e32 vcc, s75, v19
	s_and_b64 vcc, s[18:19], vcc
	v_cndmask_b32_e32 v19, 0, v18, vcc
.LBB25_129:                             ;   in Loop: Header=BB25_79 Depth=1
	s_or_b64 exec, exec, s[36:37]
	ds_bpermute_b32 v18, v61, v19
	v_mov_b32_e32 v35, 0xff800000
	s_waitcnt lgkmcnt(0)
	v_add_f32_e32 v18, v19, v18
	ds_bpermute_b32 v32, v62, v18
	s_waitcnt lgkmcnt(0)
	v_add_f32_e32 v18, v18, v32
	ds_bpermute_b32 v32, v63, v18
	;; [unrolled: 3-line block ×4, first 2 shown]
	s_and_saveexec_b64 s[36:37], s[24:25]
	s_cbranch_execz .LBB25_131
; %bb.130:                              ;   in Loop: Header=BB25_79 Depth=1
	ds_read_b32 v35, v68
.LBB25_131:                             ;   in Loop: Header=BB25_79 Depth=1
	s_or_b64 exec, exec, s[36:37]
	v_mov_b32_e32 v18, 0
	s_and_saveexec_b64 s[36:37], s[4:5]
	s_cbranch_execz .LBB25_133
; %bb.132:                              ;   in Loop: Header=BB25_79 Depth=1
	s_waitcnt lgkmcnt(0)
	v_sub_f32_e32 v18, v30, v35
	v_mul_f32_e32 v18, 0x3fb8aa3b, v18
	v_exp_f32_e32 v18, v18
	v_cmp_lg_f32_e32 vcc, s75, v35
	s_and_b64 vcc, s[22:23], vcc
	v_cndmask_b32_e32 v18, 0, v18, vcc
.LBB25_133:                             ;   in Loop: Header=BB25_79 Depth=1
	s_or_b64 exec, exec, s[36:37]
	ds_bpermute_b32 v30, v61, v18
	s_waitcnt lgkmcnt(0)
	v_add_f32_e32 v30, v18, v30
	ds_bpermute_b32 v35, v62, v30
	s_waitcnt lgkmcnt(0)
	v_add_f32_e32 v30, v30, v35
	;; [unrolled: 3-line block ×4, first 2 shown]
	ds_bpermute_b32 v30, v47, v30
	s_and_saveexec_b64 s[36:37], s[28:29]
	s_cbranch_execz .LBB25_160
; %bb.134:                              ;   in Loop: Header=BB25_79 Depth=1
	s_and_saveexec_b64 s[4:5], s[10:11]
	s_xor_b64 s[4:5], exec, s[4:5]
	s_cbranch_execnz .LBB25_142
; %bb.135:                              ;   in Loop: Header=BB25_79 Depth=1
	s_andn2_saveexec_b64 s[56:57], s[4:5]
	s_cbranch_execnz .LBB25_143
.LBB25_136:                             ;   in Loop: Header=BB25_79 Depth=1
	s_or_b64 exec, exec, s[56:57]
	s_and_saveexec_b64 s[4:5], s[12:13]
	s_xor_b64 s[4:5], exec, s[4:5]
	s_cbranch_execnz .LBB25_146
.LBB25_137:                             ;   in Loop: Header=BB25_79 Depth=1
	s_andn2_saveexec_b64 s[56:57], s[4:5]
	s_cbranch_execnz .LBB25_147
.LBB25_138:                             ;   in Loop: Header=BB25_79 Depth=1
	s_or_b64 exec, exec, s[56:57]
	s_and_saveexec_b64 s[4:5], s[16:17]
	s_xor_b64 s[4:5], exec, s[4:5]
	s_cbranch_execnz .LBB25_150
.LBB25_139:                             ;   in Loop: Header=BB25_79 Depth=1
	s_andn2_saveexec_b64 s[56:57], s[4:5]
	s_cbranch_execnz .LBB25_151
.LBB25_140:                             ;   in Loop: Header=BB25_79 Depth=1
	s_or_b64 exec, exec, s[56:57]
	s_and_saveexec_b64 s[4:5], s[20:21]
	s_xor_b64 s[4:5], exec, s[4:5]
	s_cbranch_execnz .LBB25_154
.LBB25_141:                             ;   in Loop: Header=BB25_79 Depth=1
	s_andn2_saveexec_b64 s[4:5], s[4:5]
	s_cbranch_execnz .LBB25_157
	s_branch .LBB25_160
.LBB25_142:                             ;   in Loop: Header=BB25_79 Depth=1
	ds_write_b32 v80, v31
	ds_write_b32 v69, v31
                                        ; implicit-def: $vgpr34
	s_andn2_saveexec_b64 s[56:57], s[4:5]
	s_cbranch_execz .LBB25_136
.LBB25_143:                             ;   in Loop: Header=BB25_79 Depth=1
	ds_read_b32 v37, v65
	ds_read_b32 v35, v81
	v_mov_b32_e32 v36, 0
	s_waitcnt lgkmcnt(1)
	v_cmp_neq_f32_e32 vcc, s75, v37
	s_and_saveexec_b64 s[4:5], vcc
	s_cbranch_execz .LBB25_145
; %bb.144:                              ;   in Loop: Header=BB25_79 Depth=1
	ds_read_b32 v36, v66
	s_waitcnt lgkmcnt(0)
	v_sub_f32_e32 v36, v37, v36
	v_mul_f32_e32 v36, 0x3fb8aa3b, v36
	v_exp_f32_e32 v36, v36
.LBB25_145:                             ;   in Loop: Header=BB25_79 Depth=1
	s_or_b64 exec, exec, s[4:5]
	s_waitcnt lgkmcnt(0)
	v_mul_f32_e32 v37, v35, v36
	v_fmac_f32_e32 v34, v35, v36
	v_div_scale_f32 v35, s[4:5], v34, v34, v37
	v_rcp_f32_e32 v36, v35
	v_fma_f32 v84, -v35, v36, 1.0
	v_fmac_f32_e32 v36, v84, v36
	v_div_scale_f32 v84, vcc, v37, v34, v37
	v_mul_f32_e32 v85, v84, v36
	v_fma_f32 v86, -v35, v85, v84
	v_fmac_f32_e32 v85, v86, v36
	v_fma_f32 v35, -v35, v85, v84
	v_div_fmas_f32 v35, v35, v36, v85
	v_div_scale_f32 v36, s[4:5], v34, v34, 1.0
	v_rcp_f32_e32 v84, v36
	v_div_fixup_f32 v35, v35, v34, v37
	v_cmp_lt_f32_e64 s[4:5], 0, v34
	v_cndmask_b32_e64 v35, 0, v35, s[4:5]
	v_fma_f32 v37, -v36, v84, 1.0
	v_fmac_f32_e32 v84, v37, v84
	v_div_scale_f32 v37, vcc, 1.0, v34, 1.0
	v_mul_f32_e32 v85, v37, v84
	v_fma_f32 v86, -v36, v85, v37
	v_fmac_f32_e32 v85, v86, v84
	v_fma_f32 v36, -v36, v85, v37
	v_div_fmas_f32 v36, v36, v84, v85
	v_div_fixup_f32 v36, v36, v34, 1.0
	v_cndmask_b32_e64 v36, 0, v36, s[4:5]
	ds_write_b32 v80, v35
	ds_write_b32 v69, v36
	;; [unrolled: 1-line block ×3, first 2 shown]
	s_or_b64 exec, exec, s[56:57]
	s_and_saveexec_b64 s[4:5], s[12:13]
	s_xor_b64 s[4:5], exec, s[4:5]
	s_cbranch_execz .LBB25_137
.LBB25_146:                             ;   in Loop: Header=BB25_79 Depth=1
	ds_write_b32 v80, v31 offset:4
	ds_write_b32 v69, v31 offset:4
                                        ; implicit-def: $vgpr33
	s_andn2_saveexec_b64 s[56:57], s[4:5]
	s_cbranch_execz .LBB25_138
.LBB25_147:                             ;   in Loop: Header=BB25_79 Depth=1
	ds_read_b32 v36, v65 offset:4
	ds_read_b32 v34, v81 offset:4
	v_mov_b32_e32 v35, 0
	s_waitcnt lgkmcnt(1)
	v_cmp_neq_f32_e32 vcc, s75, v36
	s_and_saveexec_b64 s[4:5], vcc
	s_cbranch_execz .LBB25_149
; %bb.148:                              ;   in Loop: Header=BB25_79 Depth=1
	ds_read_b32 v35, v66 offset:4
	s_waitcnt lgkmcnt(0)
	v_sub_f32_e32 v35, v36, v35
	v_mul_f32_e32 v35, 0x3fb8aa3b, v35
	v_exp_f32_e32 v35, v35
.LBB25_149:                             ;   in Loop: Header=BB25_79 Depth=1
	s_or_b64 exec, exec, s[4:5]
	s_waitcnt lgkmcnt(0)
	v_mul_f32_e32 v36, v34, v35
	v_fmac_f32_e32 v33, v34, v35
	v_div_scale_f32 v34, s[4:5], v33, v33, v36
	v_rcp_f32_e32 v35, v34
	v_fma_f32 v37, -v34, v35, 1.0
	v_fmac_f32_e32 v35, v37, v35
	v_div_scale_f32 v37, vcc, v36, v33, v36
	v_mul_f32_e32 v84, v37, v35
	v_fma_f32 v85, -v34, v84, v37
	v_fmac_f32_e32 v84, v85, v35
	v_fma_f32 v34, -v34, v84, v37
	v_div_fmas_f32 v34, v34, v35, v84
	v_div_scale_f32 v35, s[4:5], v33, v33, 1.0
	v_rcp_f32_e32 v37, v35
	v_div_fixup_f32 v34, v34, v33, v36
	v_cmp_lt_f32_e64 s[4:5], 0, v33
	v_cndmask_b32_e64 v34, 0, v34, s[4:5]
	v_fma_f32 v36, -v35, v37, 1.0
	v_fmac_f32_e32 v37, v36, v37
	v_div_scale_f32 v36, vcc, 1.0, v33, 1.0
	v_mul_f32_e32 v84, v36, v37
	v_fma_f32 v85, -v35, v84, v36
	v_fmac_f32_e32 v84, v85, v37
	v_fma_f32 v35, -v35, v84, v36
	v_div_fmas_f32 v35, v35, v37, v84
	v_div_fixup_f32 v35, v35, v33, 1.0
	v_cndmask_b32_e64 v35, 0, v35, s[4:5]
	ds_write_b32 v80, v34 offset:4
	ds_write_b32 v69, v35 offset:4
	;; [unrolled: 1-line block ×3, first 2 shown]
	s_or_b64 exec, exec, s[56:57]
	s_and_saveexec_b64 s[4:5], s[16:17]
	s_xor_b64 s[4:5], exec, s[4:5]
	s_cbranch_execz .LBB25_139
.LBB25_150:                             ;   in Loop: Header=BB25_79 Depth=1
	ds_write_b32 v80, v31 offset:8
	ds_write_b32 v69, v31 offset:8
                                        ; implicit-def: $vgpr32
	s_andn2_saveexec_b64 s[56:57], s[4:5]
	s_cbranch_execz .LBB25_140
.LBB25_151:                             ;   in Loop: Header=BB25_79 Depth=1
	ds_read_b32 v35, v65 offset:8
	ds_read_b32 v33, v81 offset:8
	v_mov_b32_e32 v34, 0
	s_waitcnt lgkmcnt(1)
	v_cmp_neq_f32_e32 vcc, s75, v35
	s_and_saveexec_b64 s[4:5], vcc
	s_cbranch_execz .LBB25_153
; %bb.152:                              ;   in Loop: Header=BB25_79 Depth=1
	ds_read_b32 v34, v66 offset:8
	s_waitcnt lgkmcnt(0)
	v_sub_f32_e32 v34, v35, v34
	v_mul_f32_e32 v34, 0x3fb8aa3b, v34
	v_exp_f32_e32 v34, v34
.LBB25_153:                             ;   in Loop: Header=BB25_79 Depth=1
	s_or_b64 exec, exec, s[4:5]
	s_waitcnt lgkmcnt(0)
	v_mul_f32_e32 v35, v33, v34
	v_fmac_f32_e32 v32, v33, v34
	v_div_scale_f32 v33, s[4:5], v32, v32, v35
	v_rcp_f32_e32 v34, v33
	v_fma_f32 v36, -v33, v34, 1.0
	v_fmac_f32_e32 v34, v36, v34
	v_div_scale_f32 v36, vcc, v35, v32, v35
	v_mul_f32_e32 v37, v36, v34
	v_fma_f32 v84, -v33, v37, v36
	v_fmac_f32_e32 v37, v84, v34
	v_fma_f32 v33, -v33, v37, v36
	v_div_fmas_f32 v33, v33, v34, v37
	v_div_scale_f32 v34, s[4:5], v32, v32, 1.0
	v_rcp_f32_e32 v36, v34
	v_div_fixup_f32 v33, v33, v32, v35
	v_cmp_lt_f32_e64 s[4:5], 0, v32
	v_cndmask_b32_e64 v33, 0, v33, s[4:5]
	v_fma_f32 v35, -v34, v36, 1.0
	v_fmac_f32_e32 v36, v35, v36
	v_div_scale_f32 v35, vcc, 1.0, v32, 1.0
	v_mul_f32_e32 v37, v35, v36
	v_fma_f32 v84, -v34, v37, v35
	v_fmac_f32_e32 v37, v84, v36
	v_fma_f32 v34, -v34, v37, v35
	v_div_fmas_f32 v34, v34, v36, v37
	v_div_fixup_f32 v34, v34, v32, 1.0
	v_cndmask_b32_e64 v34, 0, v34, s[4:5]
	ds_write_b32 v80, v33 offset:8
	ds_write_b32 v69, v34 offset:8
	;; [unrolled: 1-line block ×3, first 2 shown]
	s_or_b64 exec, exec, s[56:57]
	s_and_saveexec_b64 s[4:5], s[20:21]
	s_xor_b64 s[4:5], exec, s[4:5]
	s_cbranch_execz .LBB25_141
.LBB25_154:                             ;   in Loop: Header=BB25_79 Depth=1
	s_and_saveexec_b64 s[56:57], s[24:25]
	s_cbranch_execz .LBB25_156
; %bb.155:                              ;   in Loop: Header=BB25_79 Depth=1
	ds_write_b32 v71, v31
	ds_write_b32 v70, v31
.LBB25_156:                             ;   in Loop: Header=BB25_79 Depth=1
	s_or_b64 exec, exec, s[56:57]
                                        ; implicit-def: $vgpr30
	s_andn2_saveexec_b64 s[4:5], s[4:5]
	s_cbranch_execz .LBB25_160
.LBB25_157:                             ;   in Loop: Header=BB25_79 Depth=1
	ds_read_b32 v34, v67
	ds_read_b32 v32, v72
	v_mov_b32_e32 v33, 0
	s_waitcnt lgkmcnt(1)
	v_cmp_neq_f32_e32 vcc, s75, v34
	s_and_saveexec_b64 s[4:5], vcc
	s_cbranch_execz .LBB25_159
; %bb.158:                              ;   in Loop: Header=BB25_79 Depth=1
	ds_read_b32 v33, v68
	s_waitcnt lgkmcnt(0)
	v_sub_f32_e32 v33, v34, v33
	v_mul_f32_e32 v33, 0x3fb8aa3b, v33
	v_exp_f32_e32 v33, v33
.LBB25_159:                             ;   in Loop: Header=BB25_79 Depth=1
	s_or_b64 exec, exec, s[4:5]
	s_waitcnt lgkmcnt(0)
	v_mul_f32_e32 v34, v32, v33
	v_fmac_f32_e32 v30, v32, v33
	v_div_scale_f32 v32, s[4:5], v30, v30, v34
	v_rcp_f32_e32 v33, v32
	v_fma_f32 v35, -v32, v33, 1.0
	v_fmac_f32_e32 v33, v35, v33
	v_div_scale_f32 v35, vcc, v34, v30, v34
	v_mul_f32_e32 v36, v35, v33
	v_fma_f32 v37, -v32, v36, v35
	v_fmac_f32_e32 v36, v37, v33
	v_fma_f32 v32, -v32, v36, v35
	v_div_fmas_f32 v32, v32, v33, v36
	v_div_scale_f32 v33, s[4:5], v30, v30, 1.0
	v_rcp_f32_e32 v35, v33
	v_div_fixup_f32 v32, v32, v30, v34
	v_cmp_lt_f32_e64 s[4:5], 0, v30
	v_cndmask_b32_e64 v32, 0, v32, s[4:5]
	v_fma_f32 v34, -v33, v35, 1.0
	v_fmac_f32_e32 v35, v34, v35
	v_div_scale_f32 v34, vcc, 1.0, v30, 1.0
	v_mul_f32_e32 v36, v34, v35
	v_fma_f32 v37, -v33, v36, v34
	v_fmac_f32_e32 v36, v37, v35
	v_fma_f32 v33, -v33, v36, v34
	v_div_fmas_f32 v33, v33, v35, v36
	v_div_fixup_f32 v33, v33, v30, 1.0
	v_cndmask_b32_e64 v33, 0, v33, s[4:5]
	ds_write_b32 v71, v32
	ds_write_b32 v70, v33
	;; [unrolled: 1-line block ×3, first 2 shown]
.LBB25_160:                             ;   in Loop: Header=BB25_79 Depth=1
	s_or_b64 exec, exec, s[36:37]
	s_xor_b64 s[6:7], s[6:7], -1
	s_xor_b64 s[4:5], s[34:35], -1
	s_waitcnt lgkmcnt(0)
	v_mov_b32_e32 v30, 0
	v_mov_b32_e32 v84, 0
	s_barrier
	s_and_saveexec_b64 s[34:35], s[30:31]
	s_cbranch_execz .LBB25_162
; %bb.161:                              ;   in Loop: Header=BB25_79 Depth=1
	ds_read_b32 v84, v80
.LBB25_162:                             ;   in Loop: Header=BB25_79 Depth=1
	s_or_b64 exec, exec, s[34:35]
	s_and_saveexec_b64 s[34:35], s[6:7]
	s_cbranch_execz .LBB25_164
; %bb.163:                              ;   in Loop: Header=BB25_79 Depth=1
	ds_read_b32 v30, v69
	s_waitcnt lgkmcnt(0)
	v_mul_f32_e32 v30, v21, v30
.LBB25_164:                             ;   in Loop: Header=BB25_79 Depth=1
	s_or_b64 exec, exec, s[34:35]
	v_and_b32_e32 v21, 0x7f800000, v30
	v_cmp_ne_u32_e32 vcc, s70, v21
                                        ; implicit-def: $vgpr21
	s_and_saveexec_b64 s[6:7], vcc
	s_xor_b64 s[6:7], exec, s[6:7]
; %bb.165:                              ;   in Loop: Header=BB25_79 Depth=1
	v_bfe_u32 v21, v30, 16, 1
	v_add3_u32 v21, v30, v21, s71
                                        ; implicit-def: $vgpr30
; %bb.166:                              ;   in Loop: Header=BB25_79 Depth=1
	s_andn2_saveexec_b64 s[6:7], s[6:7]
; %bb.167:                              ;   in Loop: Header=BB25_79 Depth=1
	v_or_b32_e32 v21, 0x10000, v30
	v_cmp_eq_u32_sdwa vcc, v30, v79 src0_sel:WORD_0 src1_sel:DWORD
	v_cndmask_b32_e32 v21, v21, v30, vcc
; %bb.168:                              ;   in Loop: Header=BB25_79 Depth=1
	s_or_b64 exec, exec, s[6:7]
	ds_write_b16_d16_hi v73, v21
	v_mov_b32_e32 v21, 0
	v_mov_b32_e32 v85, 0
	s_and_saveexec_b64 s[6:7], s[14:15]
	s_cbranch_execz .LBB25_170
; %bb.169:                              ;   in Loop: Header=BB25_79 Depth=1
	ds_read_b32 v85, v80 offset:4
.LBB25_170:                             ;   in Loop: Header=BB25_79 Depth=1
	s_or_b64 exec, exec, s[6:7]
	s_or_b64 s[6:7], s[26:27], s[12:13]
	s_xor_b64 s[34:35], s[6:7], -1
	s_and_saveexec_b64 s[6:7], s[34:35]
	s_cbranch_execz .LBB25_172
; %bb.171:                              ;   in Loop: Header=BB25_79 Depth=1
	ds_read_b32 v21, v69 offset:4
	s_waitcnt lgkmcnt(0)
	v_mul_f32_e32 v21, v20, v21
.LBB25_172:                             ;   in Loop: Header=BB25_79 Depth=1
	s_or_b64 exec, exec, s[6:7]
	v_and_b32_e32 v20, 0x7f800000, v21
	v_cmp_ne_u32_e32 vcc, s70, v20
                                        ; implicit-def: $vgpr20
	s_and_saveexec_b64 s[6:7], vcc
	s_xor_b64 s[6:7], exec, s[6:7]
; %bb.173:                              ;   in Loop: Header=BB25_79 Depth=1
	v_bfe_u32 v20, v21, 16, 1
	v_add3_u32 v20, v21, v20, s71
                                        ; implicit-def: $vgpr21
; %bb.174:                              ;   in Loop: Header=BB25_79 Depth=1
	s_andn2_saveexec_b64 s[6:7], s[6:7]
; %bb.175:                              ;   in Loop: Header=BB25_79 Depth=1
	v_or_b32_e32 v20, 0x10000, v21
	v_cmp_eq_u32_sdwa vcc, v21, v79 src0_sel:WORD_0 src1_sel:DWORD
	v_cndmask_b32_e32 v20, v20, v21, vcc
; %bb.176:                              ;   in Loop: Header=BB25_79 Depth=1
	s_or_b64 exec, exec, s[6:7]
	ds_write_b16_d16_hi v73, v20 offset:32
	v_mov_b32_e32 v20, 0
	v_mov_b32_e32 v86, 0
	s_and_saveexec_b64 s[6:7], s[18:19]
	s_cbranch_execz .LBB25_178
; %bb.177:                              ;   in Loop: Header=BB25_79 Depth=1
	ds_read_b32 v86, v80 offset:8
.LBB25_178:                             ;   in Loop: Header=BB25_79 Depth=1
	s_or_b64 exec, exec, s[6:7]
	s_or_b64 s[6:7], s[26:27], s[16:17]
	s_xor_b64 s[26:27], s[6:7], -1
	s_and_saveexec_b64 s[6:7], s[26:27]
	s_cbranch_execz .LBB25_180
; %bb.179:                              ;   in Loop: Header=BB25_79 Depth=1
	ds_read_b32 v20, v69 offset:8
	s_waitcnt lgkmcnt(0)
	v_mul_f32_e32 v20, v19, v20
.LBB25_180:                             ;   in Loop: Header=BB25_79 Depth=1
	s_or_b64 exec, exec, s[6:7]
	v_and_b32_e32 v19, 0x7f800000, v20
	v_cmp_ne_u32_e32 vcc, s70, v19
                                        ; implicit-def: $vgpr19
	s_and_saveexec_b64 s[6:7], vcc
	s_xor_b64 s[6:7], exec, s[6:7]
; %bb.181:                              ;   in Loop: Header=BB25_79 Depth=1
	v_bfe_u32 v19, v20, 16, 1
	v_add3_u32 v19, v20, v19, s71
                                        ; implicit-def: $vgpr20
; %bb.182:                              ;   in Loop: Header=BB25_79 Depth=1
	s_andn2_saveexec_b64 s[6:7], s[6:7]
; %bb.183:                              ;   in Loop: Header=BB25_79 Depth=1
	v_or_b32_e32 v19, 0x10000, v20
	v_cmp_eq_u32_sdwa vcc, v20, v79 src0_sel:WORD_0 src1_sel:DWORD
	v_cndmask_b32_e32 v19, v19, v20, vcc
; %bb.184:                              ;   in Loop: Header=BB25_79 Depth=1
	s_or_b64 exec, exec, s[6:7]
	ds_write_b16_d16_hi v73, v19 offset:64
	v_mov_b32_e32 v19, 0
	v_mov_b32_e32 v87, 0
	s_and_saveexec_b64 s[6:7], s[22:23]
	s_cbranch_execnz .LBB25_187
; %bb.185:                              ;   in Loop: Header=BB25_79 Depth=1
	s_or_b64 exec, exec, s[6:7]
	s_and_saveexec_b64 s[6:7], s[4:5]
	s_cbranch_execnz .LBB25_188
.LBB25_186:                             ;   in Loop: Header=BB25_79 Depth=1
	s_or_b64 exec, exec, s[6:7]
	s_and_saveexec_b64 s[4:5], s[24:25]
	s_cbranch_execnz .LBB25_189
	s_branch .LBB25_194
.LBB25_187:                             ;   in Loop: Header=BB25_79 Depth=1
	ds_read_b32 v87, v71
	s_or_b64 exec, exec, s[6:7]
	s_and_saveexec_b64 s[6:7], s[4:5]
	s_cbranch_execz .LBB25_186
.LBB25_188:                             ;   in Loop: Header=BB25_79 Depth=1
	ds_read_b32 v19, v70
	s_waitcnt lgkmcnt(0)
	v_mul_f32_e32 v19, v18, v19
	s_or_b64 exec, exec, s[6:7]
	s_and_saveexec_b64 s[4:5], s[24:25]
	s_cbranch_execz .LBB25_194
.LBB25_189:                             ;   in Loop: Header=BB25_79 Depth=1
	v_and_b32_e32 v18, 0x7f800000, v19
	v_cmp_ne_u32_e32 vcc, s70, v18
                                        ; implicit-def: $vgpr18
	s_and_saveexec_b64 s[6:7], vcc
	s_xor_b64 s[6:7], exec, s[6:7]
; %bb.190:                              ;   in Loop: Header=BB25_79 Depth=1
	v_bfe_u32 v18, v19, 16, 1
	v_add3_u32 v18, v19, v18, s71
                                        ; implicit-def: $vgpr19
; %bb.191:                              ;   in Loop: Header=BB25_79 Depth=1
	s_andn2_saveexec_b64 s[6:7], s[6:7]
; %bb.192:                              ;   in Loop: Header=BB25_79 Depth=1
	v_or_b32_e32 v18, 0x10000, v19
	v_cmp_eq_u32_sdwa vcc, v19, v79 src0_sel:WORD_0 src1_sel:DWORD
	v_cndmask_b32_e32 v18, v18, v19, vcc
; %bb.193:                              ;   in Loop: Header=BB25_79 Depth=1
	s_or_b64 exec, exec, s[6:7]
	ds_write_b16_d16_hi v74, v18
.LBB25_194:                             ;   in Loop: Header=BB25_79 Depth=1
	s_or_b64 exec, exec, s[4:5]
	s_mov_b32 s45, s44
	v_pk_mov_b32 v[18:19], s[44:45], s[44:45] op_sel:[0,1]
	s_waitcnt lgkmcnt(0)
	s_barrier
	s_and_saveexec_b64 s[4:5], s[2:3]
	s_cbranch_execz .LBB25_201
; %bb.195:                              ;   in Loop: Header=BB25_79 Depth=1
	v_cmp_gt_i32_e32 vcc, s78, v39
	v_pk_mov_b32 v[18:19], s[44:45], s[44:45] op_sel:[0,1]
	s_and_saveexec_b64 s[6:7], vcc
	s_cbranch_execnz .LBB25_233
; %bb.196:                              ;   in Loop: Header=BB25_79 Depth=1
	s_or_b64 exec, exec, s[6:7]
	v_cmp_gt_i32_e32 vcc, s79, v44
	s_and_saveexec_b64 s[6:7], vcc
	s_cbranch_execnz .LBB25_234
.LBB25_197:                             ;   in Loop: Header=BB25_79 Depth=1
	s_or_b64 exec, exec, s[6:7]
	v_cmp_gt_i32_e32 vcc, s79, v43
	s_and_saveexec_b64 s[6:7], vcc
	s_cbranch_execnz .LBB25_235
.LBB25_198:                             ;   in Loop: Header=BB25_79 Depth=1
	s_or_b64 exec, exec, s[6:7]
	v_cmp_gt_i32_e32 vcc, s79, v42
	s_and_saveexec_b64 s[6:7], vcc
	s_cbranch_execz .LBB25_200
.LBB25_199:                             ;   in Loop: Header=BB25_79 Depth=1
	ds_read_u16 v20, v76
	s_waitcnt lgkmcnt(0)
	v_perm_b32 v19, v20, v19, s74
.LBB25_200:                             ;   in Loop: Header=BB25_79 Depth=1
	s_or_b64 exec, exec, s[6:7]
.LBB25_201:                             ;   in Loop: Header=BB25_79 Depth=1
	s_or_b64 exec, exec, s[4:5]
	s_mov_b32 s45, s44
	v_cmp_gt_i32_e32 vcc, s78, v39
	v_pk_mov_b32 v[20:21], s[44:45], s[44:45] op_sel:[0,1]
	s_and_saveexec_b64 s[4:5], vcc
	s_cbranch_execnz .LBB25_220
; %bb.202:                              ;   in Loop: Header=BB25_79 Depth=1
	s_or_b64 exec, exec, s[4:5]
	v_cmp_gt_i32_e64 s[4:5], s79, v44
	s_and_saveexec_b64 s[6:7], s[4:5]
	s_cbranch_execnz .LBB25_221
.LBB25_203:                             ;   in Loop: Header=BB25_79 Depth=1
	s_or_b64 exec, exec, s[6:7]
	v_cmp_gt_i32_e64 s[6:7], s79, v43
	s_and_saveexec_b64 s[26:27], s[6:7]
	s_cbranch_execnz .LBB25_222
.LBB25_204:                             ;   in Loop: Header=BB25_79 Depth=1
	s_or_b64 exec, exec, s[26:27]
	v_cmp_gt_i32_e64 s[26:27], s79, v42
	s_and_saveexec_b64 s[34:35], s[26:27]
	s_cbranch_execz .LBB25_206
.LBB25_205:                             ;   in Loop: Header=BB25_79 Depth=1
	ds_read_u16 v30, v49
	s_waitcnt lgkmcnt(0)
	v_perm_b32 v21, v30, v21, s74
.LBB25_206:                             ;   in Loop: Header=BB25_79 Depth=1
	s_or_b64 exec, exec, s[34:35]
	s_mov_b32 s45, s44
	v_pk_mov_b32 v[32:33], s[44:45], s[44:45] op_sel:[0,1]
	s_and_saveexec_b64 s[34:35], vcc
	s_cbranch_execnz .LBB25_223
; %bb.207:                              ;   in Loop: Header=BB25_79 Depth=1
	s_or_b64 exec, exec, s[34:35]
	s_and_saveexec_b64 s[34:35], s[4:5]
	s_cbranch_execnz .LBB25_224
.LBB25_208:                             ;   in Loop: Header=BB25_79 Depth=1
	s_or_b64 exec, exec, s[34:35]
	s_and_saveexec_b64 s[34:35], s[6:7]
	s_cbranch_execnz .LBB25_225
.LBB25_209:                             ;   in Loop: Header=BB25_79 Depth=1
	s_or_b64 exec, exec, s[34:35]
	s_and_saveexec_b64 s[34:35], s[26:27]
	s_cbranch_execz .LBB25_211
.LBB25_210:                             ;   in Loop: Header=BB25_79 Depth=1
	ds_read_u16 v30, v49 offset:512
	s_waitcnt lgkmcnt(0)
	v_perm_b32 v33, v30, v33, s74
.LBB25_211:                             ;   in Loop: Header=BB25_79 Depth=1
	s_or_b64 exec, exec, s[34:35]
	s_mov_b32 s45, s44
	v_pk_mov_b32 v[34:35], s[44:45], s[44:45] op_sel:[0,1]
	s_and_saveexec_b64 s[34:35], vcc
	s_cbranch_execnz .LBB25_226
; %bb.212:                              ;   in Loop: Header=BB25_79 Depth=1
	s_or_b64 exec, exec, s[34:35]
	s_and_saveexec_b64 s[34:35], s[4:5]
	s_cbranch_execnz .LBB25_227
.LBB25_213:                             ;   in Loop: Header=BB25_79 Depth=1
	s_or_b64 exec, exec, s[34:35]
	s_and_saveexec_b64 s[34:35], s[6:7]
	s_cbranch_execnz .LBB25_228
.LBB25_214:                             ;   in Loop: Header=BB25_79 Depth=1
	s_or_b64 exec, exec, s[34:35]
	s_and_saveexec_b64 s[34:35], s[26:27]
	s_cbranch_execz .LBB25_216
.LBB25_215:                             ;   in Loop: Header=BB25_79 Depth=1
	ds_read_u16 v30, v49 offset:1024
	s_waitcnt lgkmcnt(0)
	v_perm_b32 v35, v30, v35, s74
.LBB25_216:                             ;   in Loop: Header=BB25_79 Depth=1
	s_or_b64 exec, exec, s[34:35]
	s_mov_b32 s45, s44
	v_pk_mov_b32 v[36:37], s[44:45], s[44:45] op_sel:[0,1]
	s_and_saveexec_b64 s[34:35], vcc
	s_cbranch_execnz .LBB25_229
; %bb.217:                              ;   in Loop: Header=BB25_79 Depth=1
	s_or_b64 exec, exec, s[34:35]
	s_and_saveexec_b64 s[34:35], s[4:5]
	s_cbranch_execnz .LBB25_230
.LBB25_218:                             ;   in Loop: Header=BB25_79 Depth=1
	s_or_b64 exec, exec, s[34:35]
	s_and_saveexec_b64 s[4:5], s[6:7]
	s_cbranch_execnz .LBB25_231
.LBB25_219:                             ;   in Loop: Header=BB25_79 Depth=1
	s_or_b64 exec, exec, s[4:5]
	s_and_saveexec_b64 s[4:5], s[26:27]
	s_cbranch_execz .LBB25_78
	s_branch .LBB25_232
.LBB25_220:                             ;   in Loop: Header=BB25_79 Depth=1
	ds_read_u16 v20, v48
	s_waitcnt lgkmcnt(0)
	v_and_b32_e32 v30, 0xffff, v20
	v_pk_mov_b32 v[20:21], v[30:31], v[30:31] op_sel:[0,1]
	s_or_b64 exec, exec, s[4:5]
	v_cmp_gt_i32_e64 s[4:5], s79, v44
	s_and_saveexec_b64 s[6:7], s[4:5]
	s_cbranch_execz .LBB25_203
.LBB25_221:                             ;   in Loop: Header=BB25_79 Depth=1
	ds_read_u16 v30, v48 offset:2
	s_waitcnt lgkmcnt(0)
	v_perm_b32 v20, v30, v20, s74
	s_or_b64 exec, exec, s[6:7]
	v_cmp_gt_i32_e64 s[6:7], s79, v43
	s_and_saveexec_b64 s[26:27], s[6:7]
	s_cbranch_execz .LBB25_204
.LBB25_222:                             ;   in Loop: Header=BB25_79 Depth=1
	ds_read_u16 v30, v48 offset:4
	s_waitcnt lgkmcnt(0)
	v_bfi_b32 v21, s72, v30, v21
	s_or_b64 exec, exec, s[26:27]
	v_cmp_gt_i32_e64 s[26:27], s79, v42
	s_and_saveexec_b64 s[34:35], s[26:27]
	s_cbranch_execnz .LBB25_205
	s_branch .LBB25_206
.LBB25_223:                             ;   in Loop: Header=BB25_79 Depth=1
	ds_read_u16 v30, v48 offset:512
	s_waitcnt lgkmcnt(0)
	v_and_b32_e32 v30, 0xffff, v30
	v_pk_mov_b32 v[32:33], v[30:31], v[30:31] op_sel:[0,1]
	s_or_b64 exec, exec, s[34:35]
	s_and_saveexec_b64 s[34:35], s[4:5]
	s_cbranch_execz .LBB25_208
.LBB25_224:                             ;   in Loop: Header=BB25_79 Depth=1
	ds_read_u16 v30, v48 offset:514
	s_waitcnt lgkmcnt(0)
	v_perm_b32 v32, v30, v32, s74
	s_or_b64 exec, exec, s[34:35]
	s_and_saveexec_b64 s[34:35], s[6:7]
	s_cbranch_execz .LBB25_209
.LBB25_225:                             ;   in Loop: Header=BB25_79 Depth=1
	ds_read_u16 v30, v48 offset:516
	s_waitcnt lgkmcnt(0)
	v_bfi_b32 v33, s72, v30, v33
	s_or_b64 exec, exec, s[34:35]
	s_and_saveexec_b64 s[34:35], s[26:27]
	s_cbranch_execnz .LBB25_210
	s_branch .LBB25_211
.LBB25_226:                             ;   in Loop: Header=BB25_79 Depth=1
	ds_read_u16 v30, v48 offset:1024
	s_waitcnt lgkmcnt(0)
	v_and_b32_e32 v30, 0xffff, v30
	v_pk_mov_b32 v[34:35], v[30:31], v[30:31] op_sel:[0,1]
	s_or_b64 exec, exec, s[34:35]
	s_and_saveexec_b64 s[34:35], s[4:5]
	s_cbranch_execz .LBB25_213
.LBB25_227:                             ;   in Loop: Header=BB25_79 Depth=1
	ds_read_u16 v30, v48 offset:1026
	s_waitcnt lgkmcnt(0)
	v_perm_b32 v34, v30, v34, s74
	s_or_b64 exec, exec, s[34:35]
	s_and_saveexec_b64 s[34:35], s[6:7]
	s_cbranch_execz .LBB25_214
.LBB25_228:                             ;   in Loop: Header=BB25_79 Depth=1
	ds_read_u16 v30, v48 offset:1028
	s_waitcnt lgkmcnt(0)
	v_bfi_b32 v35, s72, v30, v35
	s_or_b64 exec, exec, s[34:35]
	s_and_saveexec_b64 s[34:35], s[26:27]
	s_cbranch_execnz .LBB25_215
	s_branch .LBB25_216
.LBB25_229:                             ;   in Loop: Header=BB25_79 Depth=1
	ds_read_u16 v30, v50
	s_waitcnt lgkmcnt(0)
	v_and_b32_e32 v30, 0xffff, v30
	v_pk_mov_b32 v[36:37], v[30:31], v[30:31] op_sel:[0,1]
	s_or_b64 exec, exec, s[34:35]
	s_and_saveexec_b64 s[34:35], s[4:5]
	s_cbranch_execz .LBB25_218
.LBB25_230:                             ;   in Loop: Header=BB25_79 Depth=1
	ds_read_u16 v30, v50 offset:2
	s_waitcnt lgkmcnt(0)
	v_perm_b32 v36, v30, v36, s74
	s_or_b64 exec, exec, s[34:35]
	s_and_saveexec_b64 s[4:5], s[6:7]
	s_cbranch_execz .LBB25_219
.LBB25_231:                             ;   in Loop: Header=BB25_79 Depth=1
	ds_read_u16 v30, v50 offset:4
	s_waitcnt lgkmcnt(0)
	v_bfi_b32 v37, s72, v30, v37
	s_or_b64 exec, exec, s[4:5]
	s_and_saveexec_b64 s[4:5], s[26:27]
	s_cbranch_execz .LBB25_78
.LBB25_232:                             ;   in Loop: Header=BB25_79 Depth=1
	ds_read_u16 v30, v51
	s_waitcnt lgkmcnt(0)
	v_perm_b32 v37, v30, v37, s74
	s_branch .LBB25_78
.LBB25_233:                             ;   in Loop: Header=BB25_79 Depth=1
	ds_read_u16 v18, v75
	s_waitcnt lgkmcnt(0)
	v_and_b32_e32 v30, 0xffff, v18
	v_pk_mov_b32 v[18:19], v[30:31], v[30:31] op_sel:[0,1]
	s_or_b64 exec, exec, s[6:7]
	v_cmp_gt_i32_e32 vcc, s79, v44
	s_and_saveexec_b64 s[6:7], vcc
	s_cbranch_execz .LBB25_197
.LBB25_234:                             ;   in Loop: Header=BB25_79 Depth=1
	ds_read_u16 v20, v75 offset:2
	s_waitcnt lgkmcnt(0)
	v_perm_b32 v18, v20, v18, s74
	s_or_b64 exec, exec, s[6:7]
	v_cmp_gt_i32_e32 vcc, s79, v43
	s_and_saveexec_b64 s[6:7], vcc
	s_cbranch_execz .LBB25_198
.LBB25_235:                             ;   in Loop: Header=BB25_79 Depth=1
	ds_read_u16 v20, v75 offset:4
	s_waitcnt lgkmcnt(0)
	v_bfi_b32 v19, s72, v20, v19
	s_or_b64 exec, exec, s[6:7]
	v_cmp_gt_i32_e32 vcc, s79, v42
	s_and_saveexec_b64 s[6:7], vcc
	s_cbranch_execnz .LBB25_199
	s_branch .LBB25_200
.LBB25_236:                             ;   in Loop: Header=BB25_79 Depth=1
                                        ; implicit-def: $vgpr19
.LBB25_237:                             ;   in Loop: Header=BB25_79 Depth=1
	v_and_b32_e32 v19, s64, v18
.LBB25_238:                             ;   in Loop: Header=BB25_79 Depth=1
	v_mov_b32_e32 v18, v19
.LBB25_239:                             ;   in Loop: Header=BB25_79 Depth=1
	s_and_b64 s[34:35], s[0:1], exec
	s_andn2_saveexec_b64 s[6:7], s[6:7]
	s_cbranch_execz .LBB25_81
.LBB25_240:                             ;   in Loop: Header=BB25_79 Depth=1
	s_andn2_b64 s[34:35], s[34:35], exec
	s_and_b64 s[36:37], s[0:1], exec
	v_mov_b32_e32 v18, 0
	s_or_b64 s[34:35], s[34:35], s[36:37]
	s_or_b64 exec, exec, s[6:7]
	s_and_saveexec_b64 s[6:7], s[34:35]
	s_cbranch_execnz .LBB25_82
	s_branch .LBB25_83
.LBB25_241:
	s_cmp_lg_u64 s[40:41], 0
	s_cbranch_scc0 .LBB25_283
; %bb.242:
	v_cmp_eq_u32_e32 vcc, 0, v38
	s_and_saveexec_b64 s[0:1], vcc
	s_cbranch_execz .LBB25_280
; %bb.243:
	v_cmp_le_u32_e32 vcc, s39, v39
	s_and_saveexec_b64 s[2:3], vcc
	s_xor_b64 s[2:3], exec, s[2:3]
	s_cbranch_execz .LBB25_245
; %bb.244:
	v_mov_b32_e32 v1, 1.0
	ds_write_b32 v41, v1 offset:4928
.LBB25_245:
	s_andn2_saveexec_b64 s[2:3], s[2:3]
	s_cbranch_execz .LBB25_251
; %bb.246:
	v_add_u32_e32 v18, s33, v39
	v_ashrrev_i32_e32 v19, 31, v18
	v_lshlrev_b64 v[18:19], 1, v[18:19]
	v_mov_b32_e32 v1, s41
	v_add_co_u32_e32 v18, vcc, s40, v18
	v_addc_co_u32_e32 v19, vcc, v1, v19, vcc
	global_load_ushort v1, v[18:19], off
	s_movk_i32 s4, 0x1f8
	s_waitcnt vmcnt(0)
	v_lshlrev_b32_e32 v1, 16, v1
	v_cmp_class_f32_e64 s[4:5], v1, s4
	s_and_saveexec_b64 s[6:7], s[4:5]
	s_xor_b64 s[4:5], exec, s[6:7]
	s_cbranch_execz .LBB25_248
; %bb.247:
	v_add_u32_e32 v20, 0x1000, v41
	ds_read2_b32 v[18:19], v20 offset0:144 offset1:160
	v_max_f32_e32 v21, v1, v1
	s_mov_b32 s6, 0xff800000
	s_waitcnt lgkmcnt(0)
	v_max_f32_e32 v22, v19, v19
	v_max_f32_e32 v21, v22, v21
	v_sub_f32_e32 v22, v19, v21
	v_sub_f32_e32 v1, v1, v21
	v_mul_f32_e32 v22, 0x3fb8aa3b, v22
	v_exp_f32_e32 v22, v22
	v_mul_f32_e32 v1, 0x3fb8aa3b, v1
	v_exp_f32_e32 v1, v1
	v_cmp_neq_f32_e32 vcc, s6, v19
	v_cndmask_b32_e32 v19, 0, v22, vcc
	v_mul_f32_e32 v22, v18, v19
	v_fmac_f32_e32 v1, v18, v19
	v_div_scale_f32 v18, s[6:7], v1, v1, v22
	v_rcp_f32_e32 v19, v18
	v_div_scale_f32 v23, vcc, v22, v1, v22
	v_fma_f32 v24, -v18, v19, 1.0
	v_fmac_f32_e32 v19, v24, v19
	v_mul_f32_e32 v24, v23, v19
	v_fma_f32 v25, -v18, v24, v23
	v_fmac_f32_e32 v24, v25, v19
	v_fma_f32 v18, -v18, v24, v23
	v_div_fmas_f32 v18, v18, v19, v24
	v_div_fixup_f32 v18, v18, v1, v22
	v_cmp_lt_f32_e32 vcc, 0, v1
	v_cndmask_b32_e32 v18, 1.0, v18, vcc
	ds_write_b32 v41, v18 offset:4928
	ds_write2_b32 v20, v1, v21 offset0:144 offset1:160
.LBB25_248:
	s_andn2_saveexec_b64 s[4:5], s[4:5]
	s_cbranch_execz .LBB25_250
; %bb.249:
	v_mov_b32_e32 v1, 1.0
	ds_write_b32 v41, v1 offset:4928
.LBB25_250:
	s_or_b64 exec, exec, s[4:5]
.LBB25_251:
	s_or_b64 exec, exec, s[2:3]
	v_or_b32_e32 v1, 1, v40
	v_cmp_le_u32_e32 vcc, s60, v1
	s_and_saveexec_b64 s[2:3], vcc
	s_xor_b64 s[2:3], exec, s[2:3]
	s_cbranch_execz .LBB25_255
; %bb.252:
	v_cmp_gt_u32_e32 vcc, 64, v0
	s_and_saveexec_b64 s[4:5], vcc
	s_cbranch_execz .LBB25_254
; %bb.253:
	v_lshlrev_b32_e32 v1, 2, v40
	v_mov_b32_e32 v18, 1.0
	ds_write_b32 v1, v18 offset:4932
.LBB25_254:
	s_or_b64 exec, exec, s[4:5]
.LBB25_255:
	s_andn2_saveexec_b64 s[2:3], s[2:3]
	s_cbranch_execz .LBB25_261
; %bb.256:
	s_ashr_i32 s4, s33, 31
	v_mov_b32_e32 v1, s4
	v_add_co_u32_e32 v18, vcc, s33, v40
	v_addc_co_u32_e32 v19, vcc, 0, v1, vcc
	v_lshlrev_b64 v[18:19], 1, v[18:19]
	v_mov_b32_e32 v1, s41
	v_add_co_u32_e32 v18, vcc, s40, v18
	v_addc_co_u32_e32 v19, vcc, v1, v19, vcc
	global_load_ushort v1, v[18:19], off offset:2
	s_movk_i32 s4, 0x1f8
	s_waitcnt vmcnt(0)
	v_lshlrev_b32_e32 v1, 16, v1
	v_cmp_class_f32_e64 s[4:5], v1, s4
	s_and_saveexec_b64 s[6:7], s[4:5]
	s_xor_b64 s[4:5], exec, s[6:7]
	s_cbranch_execz .LBB25_258
; %bb.257:
	v_lshlrev_b32_e32 v20, 2, v40
	v_add_u32_e32 v21, 0x1000, v20
	ds_read2_b32 v[18:19], v21 offset0:145 offset1:161
	v_max_f32_e32 v22, v1, v1
	s_mov_b32 s6, 0xff800000
	s_waitcnt lgkmcnt(0)
	v_max_f32_e32 v23, v19, v19
	v_max_f32_e32 v22, v23, v22
	v_sub_f32_e32 v23, v19, v22
	v_sub_f32_e32 v1, v1, v22
	v_mul_f32_e32 v23, 0x3fb8aa3b, v23
	v_exp_f32_e32 v23, v23
	v_mul_f32_e32 v1, 0x3fb8aa3b, v1
	v_exp_f32_e32 v1, v1
	v_cmp_neq_f32_e32 vcc, s6, v19
	v_cndmask_b32_e32 v19, 0, v23, vcc
	v_mul_f32_e32 v23, v18, v19
	v_fmac_f32_e32 v1, v18, v19
	v_div_scale_f32 v18, s[6:7], v1, v1, v23
	v_rcp_f32_e32 v19, v18
	v_div_scale_f32 v24, vcc, v23, v1, v23
	v_fma_f32 v25, -v18, v19, 1.0
	v_fmac_f32_e32 v19, v25, v19
	v_mul_f32_e32 v25, v24, v19
	v_fma_f32 v26, -v18, v25, v24
	v_fmac_f32_e32 v25, v26, v19
	v_fma_f32 v18, -v18, v25, v24
	v_div_fmas_f32 v18, v18, v19, v25
	v_div_fixup_f32 v18, v18, v1, v23
	v_cmp_lt_f32_e32 vcc, 0, v1
	v_cndmask_b32_e32 v18, 1.0, v18, vcc
	ds_write_b32 v20, v18 offset:4932
	ds_write2_b32 v21, v1, v22 offset0:145 offset1:161
.LBB25_258:
	s_andn2_saveexec_b64 s[4:5], s[4:5]
	s_cbranch_execz .LBB25_260
; %bb.259:
	v_lshlrev_b32_e32 v1, 2, v40
	v_mov_b32_e32 v18, 1.0
	ds_write_b32 v1, v18 offset:4932
.LBB25_260:
	s_or_b64 exec, exec, s[4:5]
.LBB25_261:
	s_or_b64 exec, exec, s[2:3]
	v_or_b32_e32 v1, 2, v40
	v_cmp_le_u32_e32 vcc, s60, v1
	s_and_saveexec_b64 s[2:3], vcc
	s_xor_b64 s[2:3], exec, s[2:3]
	s_cbranch_execz .LBB25_265
; %bb.262:
	v_cmp_gt_u32_e32 vcc, 64, v0
	s_and_saveexec_b64 s[4:5], vcc
	s_cbranch_execz .LBB25_264
; %bb.263:
	v_lshlrev_b32_e32 v1, 2, v40
	v_mov_b32_e32 v18, 1.0
	ds_write_b32 v1, v18 offset:4936
.LBB25_264:
	s_or_b64 exec, exec, s[4:5]
.LBB25_265:
	s_andn2_saveexec_b64 s[2:3], s[2:3]
	s_cbranch_execz .LBB25_271
; %bb.266:
	s_ashr_i32 s4, s33, 31
	v_mov_b32_e32 v1, s4
	v_add_co_u32_e32 v18, vcc, s33, v40
	v_addc_co_u32_e32 v19, vcc, 0, v1, vcc
	v_lshlrev_b64 v[18:19], 1, v[18:19]
	v_mov_b32_e32 v1, s41
	v_add_co_u32_e32 v18, vcc, s40, v18
	v_addc_co_u32_e32 v19, vcc, v1, v19, vcc
	global_load_ushort v1, v[18:19], off offset:4
	s_movk_i32 s4, 0x1f8
	s_waitcnt vmcnt(0)
	v_lshlrev_b32_e32 v1, 16, v1
	v_cmp_class_f32_e64 s[4:5], v1, s4
	s_and_saveexec_b64 s[6:7], s[4:5]
	s_xor_b64 s[4:5], exec, s[6:7]
	s_cbranch_execz .LBB25_268
; %bb.267:
	v_lshlrev_b32_e32 v20, 2, v40
	v_add_u32_e32 v21, 0x1000, v20
	ds_read2_b32 v[18:19], v21 offset0:146 offset1:162
	v_max_f32_e32 v22, v1, v1
	s_mov_b32 s6, 0xff800000
	s_waitcnt lgkmcnt(0)
	v_max_f32_e32 v23, v19, v19
	v_max_f32_e32 v22, v23, v22
	v_sub_f32_e32 v23, v19, v22
	v_sub_f32_e32 v1, v1, v22
	v_mul_f32_e32 v23, 0x3fb8aa3b, v23
	v_exp_f32_e32 v23, v23
	v_mul_f32_e32 v1, 0x3fb8aa3b, v1
	v_exp_f32_e32 v1, v1
	v_cmp_neq_f32_e32 vcc, s6, v19
	v_cndmask_b32_e32 v19, 0, v23, vcc
	v_mul_f32_e32 v23, v18, v19
	v_fmac_f32_e32 v1, v18, v19
	v_div_scale_f32 v18, s[6:7], v1, v1, v23
	v_rcp_f32_e32 v19, v18
	v_div_scale_f32 v24, vcc, v23, v1, v23
	v_fma_f32 v25, -v18, v19, 1.0
	v_fmac_f32_e32 v19, v25, v19
	v_mul_f32_e32 v25, v24, v19
	v_fma_f32 v26, -v18, v25, v24
	v_fmac_f32_e32 v25, v26, v19
	v_fma_f32 v18, -v18, v25, v24
	v_div_fmas_f32 v18, v18, v19, v25
	v_div_fixup_f32 v18, v18, v1, v23
	v_cmp_lt_f32_e32 vcc, 0, v1
	v_cndmask_b32_e32 v18, 1.0, v18, vcc
	ds_write_b32 v20, v18 offset:4936
	ds_write2_b32 v21, v1, v22 offset0:146 offset1:162
.LBB25_268:
	s_andn2_saveexec_b64 s[4:5], s[4:5]
	s_cbranch_execz .LBB25_270
; %bb.269:
	v_lshlrev_b32_e32 v1, 2, v40
	v_mov_b32_e32 v18, 1.0
	ds_write_b32 v1, v18 offset:4936
.LBB25_270:
	s_or_b64 exec, exec, s[4:5]
.LBB25_271:
	s_or_b64 exec, exec, s[2:3]
	v_cmp_le_u32_e32 vcc, s60, v42
	s_and_saveexec_b64 s[2:3], vcc
	s_xor_b64 s[2:3], exec, s[2:3]
	s_cbranch_execz .LBB25_275
; %bb.272:
	v_cmp_gt_u32_e32 vcc, 64, v0
	s_and_saveexec_b64 s[4:5], vcc
	s_cbranch_execz .LBB25_274
; %bb.273:
	v_lshlrev_b32_e32 v1, 2, v40
	v_mov_b32_e32 v18, 1.0
	ds_write_b32 v1, v18 offset:4940
.LBB25_274:
	s_or_b64 exec, exec, s[4:5]
.LBB25_275:
	s_andn2_saveexec_b64 s[2:3], s[2:3]
	s_cbranch_execz .LBB25_280
; %bb.276:
	s_ashr_i32 s2, s33, 31
	v_mov_b32_e32 v1, s2
	v_add_co_u32_e32 v18, vcc, s33, v40
	v_addc_co_u32_e32 v19, vcc, 0, v1, vcc
	v_lshlrev_b64 v[18:19], 1, v[18:19]
	v_mov_b32_e32 v1, s41
	v_add_co_u32_e32 v18, vcc, s40, v18
	v_addc_co_u32_e32 v19, vcc, v1, v19, vcc
	global_load_ushort v1, v[18:19], off offset:6
	s_movk_i32 s2, 0x1f8
	s_waitcnt vmcnt(0)
	v_lshlrev_b32_e32 v18, 16, v1
	v_cmp_class_f32_e64 s[2:3], v18, s2
	v_lshlrev_b32_e32 v1, 2, v40
	s_and_saveexec_b64 s[4:5], s[2:3]
	s_xor_b64 s[2:3], exec, s[4:5]
	s_cbranch_execz .LBB25_278
; %bb.277:
	v_add_u32_e32 v19, 0x1000, v1
	ds_read2_b32 v[20:21], v19 offset0:147 offset1:163
	v_max_f32_e32 v22, v18, v18
	s_mov_b32 s4, 0xff800000
	s_waitcnt lgkmcnt(0)
	v_max_f32_e32 v23, v21, v21
	v_max_f32_e32 v22, v23, v22
	v_sub_f32_e32 v23, v21, v22
	v_sub_f32_e32 v18, v18, v22
	v_mul_f32_e32 v23, 0x3fb8aa3b, v23
	v_exp_f32_e32 v23, v23
	v_mul_f32_e32 v18, 0x3fb8aa3b, v18
	v_exp_f32_e32 v18, v18
	v_cmp_neq_f32_e32 vcc, s4, v21
	v_cndmask_b32_e32 v21, 0, v23, vcc
	v_mul_f32_e32 v23, v20, v21
	v_fmac_f32_e32 v18, v20, v21
	v_div_scale_f32 v20, s[4:5], v18, v18, v23
	v_rcp_f32_e32 v21, v20
	v_div_scale_f32 v24, vcc, v23, v18, v23
	v_fma_f32 v25, -v20, v21, 1.0
	v_fmac_f32_e32 v21, v25, v21
	v_mul_f32_e32 v25, v24, v21
	v_fma_f32 v26, -v20, v25, v24
	v_fmac_f32_e32 v25, v26, v21
	v_fma_f32 v20, -v20, v25, v24
	v_div_fmas_f32 v20, v20, v21, v25
	v_div_fixup_f32 v20, v20, v18, v23
	v_cmp_lt_f32_e32 vcc, 0, v18
	v_cndmask_b32_e32 v20, 1.0, v20, vcc
	ds_write_b32 v1, v20 offset:4940
	ds_write2_b32 v19, v18, v22 offset0:147 offset1:163
                                        ; implicit-def: $vgpr1
.LBB25_278:
	s_andn2_saveexec_b64 s[2:3], s[2:3]
	s_cbranch_execz .LBB25_280
; %bb.279:
	v_mov_b32_e32 v18, 1.0
	ds_write_b32 v1, v18 offset:4940
.LBB25_280:
	s_or_b64 exec, exec, s[0:1]
	s_waitcnt lgkmcnt(0)
	s_barrier
	ds_read_b96 v[18:20], v41 offset:4928
	v_cmp_gt_u32_e32 vcc, 64, v0
	v_mov_b32_e32 v1, 1.0
	s_and_saveexec_b64 s[0:1], vcc
	s_cbranch_execz .LBB25_282
; %bb.281:
	v_lshl_or_b32 v1, v40, 2, 12
	ds_read_b32 v1, v1 offset:4928
.LBB25_282:
	s_or_b64 exec, exec, s[0:1]
	s_waitcnt lgkmcnt(0)
	v_pk_mul_f32 v[14:15], v[14:15], v[18:19]
	v_pk_mul_f32 v[10:11], v[10:11], v[18:19]
	v_pk_mul_f32 v[2:3], v[2:3], v[18:19]
	v_pk_mul_f32 v[6:7], v[6:7], v[18:19]
	v_mul_f32_e32 v12, v12, v20
	v_mul_f32_e32 v4, v4, v20
	;; [unrolled: 1-line block ×8, first 2 shown]
.LBB25_283:
	s_lshl_b64 s[0:1], s[48:49], 2
	s_add_u32 s2, s42, s0
	v_or_b32_e32 v0, 48, v0
	s_addc_u32 s3, s43, s1
	v_cmp_gt_u32_e32 vcc, s39, v39
	v_lshlrev_b32_e32 v1, 2, v38
	v_lshlrev_b32_e32 v0, 2, v0
	s_and_saveexec_b64 s[0:1], vcc
	s_cbranch_execnz .LBB25_289
; %bb.284:
	s_or_b64 exec, exec, s[0:1]
	v_cmp_gt_u32_e32 vcc, s60, v44
	s_and_saveexec_b64 s[0:1], vcc
	s_cbranch_execnz .LBB25_290
.LBB25_285:
	s_or_b64 exec, exec, s[0:1]
	v_cmp_gt_u32_e32 vcc, s60, v43
	s_and_saveexec_b64 s[0:1], vcc
	s_cbranch_execnz .LBB25_291
.LBB25_286:
	s_or_b64 exec, exec, s[0:1]
	v_cmp_gt_u32_e32 vcc, s60, v42
	s_and_b64 exec, exec, vcc
	s_cbranch_execz .LBB25_288
.LBB25_287:
	v_add_u32_e32 v2, s33, v42
	v_ashrrev_i32_e32 v3, 31, v2
	v_lshlrev_b64 v[2:3], 8, v[2:3]
	v_mov_b32_e32 v4, s3
	v_add_co_u32_e32 v6, vcc, s2, v2
	v_addc_co_u32_e32 v4, vcc, v4, v3, vcc
	v_add_co_u32_e32 v2, vcc, v6, v1
	v_addc_co_u32_e32 v3, vcc, 0, v4, vcc
	;; [unrolled: 2-line block ×3, first 2 shown]
	global_store_dword v[2:3], v13, off
	global_store_dword v[2:3], v5, off offset:64
	global_store_dword v[2:3], v9, off offset:128
	global_store_dword v[0:1], v17, off
.LBB25_288:
	s_endpgm
.LBB25_289:
	v_add_u32_e32 v18, s33, v39
	v_ashrrev_i32_e32 v19, 31, v18
	v_lshlrev_b64 v[18:19], 8, v[18:19]
	v_mov_b32_e32 v20, s3
	v_add_co_u32_e32 v21, vcc, s2, v18
	v_addc_co_u32_e32 v20, vcc, v20, v19, vcc
	v_add_co_u32_e32 v18, vcc, v21, v1
	v_addc_co_u32_e32 v19, vcc, 0, v20, vcc
	global_store_dword v[18:19], v10, off
	global_store_dword v[18:19], v2, off offset:64
	global_store_dword v[18:19], v6, off offset:128
	v_add_co_u32_e32 v18, vcc, v21, v0
	v_addc_co_u32_e32 v19, vcc, 0, v20, vcc
	global_store_dword v[18:19], v14, off
	s_or_b64 exec, exec, s[0:1]
	v_cmp_gt_u32_e32 vcc, s60, v44
	s_and_saveexec_b64 s[0:1], vcc
	s_cbranch_execz .LBB25_285
.LBB25_290:
	v_add_u32_e32 v18, s33, v44
	v_ashrrev_i32_e32 v19, 31, v18
	v_lshlrev_b64 v[18:19], 8, v[18:19]
	v_mov_b32_e32 v2, s3
	v_add_co_u32_e32 v6, vcc, s2, v18
	v_addc_co_u32_e32 v10, vcc, v2, v19, vcc
	v_add_co_u32_e32 v18, vcc, v6, v1
	v_addc_co_u32_e32 v19, vcc, 0, v10, vcc
	v_add_co_u32_e32 v2, vcc, v6, v0
	global_store_dword v[18:19], v11, off
	global_store_dword v[18:19], v3, off offset:64
	global_store_dword v[18:19], v7, off offset:128
	v_addc_co_u32_e32 v3, vcc, 0, v10, vcc
	global_store_dword v[2:3], v15, off
	s_or_b64 exec, exec, s[0:1]
	v_cmp_gt_u32_e32 vcc, s60, v43
	s_and_saveexec_b64 s[0:1], vcc
	s_cbranch_execz .LBB25_286
.LBB25_291:
	v_add_u32_e32 v2, s33, v43
	v_ashrrev_i32_e32 v3, 31, v2
	v_lshlrev_b64 v[2:3], 8, v[2:3]
	v_mov_b32_e32 v6, s3
	v_add_co_u32_e32 v7, vcc, s2, v2
	v_addc_co_u32_e32 v6, vcc, v6, v3, vcc
	v_add_co_u32_e32 v2, vcc, v7, v1
	v_addc_co_u32_e32 v3, vcc, 0, v6, vcc
	global_store_dword v[2:3], v12, off
	global_store_dword v[2:3], v4, off offset:64
	global_store_dword v[2:3], v8, off offset:128
	v_add_co_u32_e32 v2, vcc, v7, v0
	v_addc_co_u32_e32 v3, vcc, 0, v6, vcc
	global_store_dword v[2:3], v16, off
	s_or_b64 exec, exec, s[0:1]
	v_cmp_gt_u32_e32 vcc, s60, v42
	s_and_b64 exec, exec, vcc
	s_cbranch_execnz .LBB25_287
	s_branch .LBB25_288
	.section	.rodata,"a",@progbits
	.p2align	6, 0x0
	.amdhsa_kernel _Z22fa2_decode_mfma_head64IfLb0ELi16ELi16EEvPKfPKvS3_S1_PK14__hip_bfloat16PfiiiiiiiiPKiS9_xPKxS9_S9_i
		.amdhsa_group_segment_fixed_size 4992
		.amdhsa_private_segment_fixed_size 0
		.amdhsa_kernarg_size 132
		.amdhsa_user_sgpr_count 6
		.amdhsa_user_sgpr_private_segment_buffer 1
		.amdhsa_user_sgpr_dispatch_ptr 0
		.amdhsa_user_sgpr_queue_ptr 0
		.amdhsa_user_sgpr_kernarg_segment_ptr 1
		.amdhsa_user_sgpr_dispatch_id 0
		.amdhsa_user_sgpr_flat_scratch_init 0
		.amdhsa_user_sgpr_kernarg_preload_length 0
		.amdhsa_user_sgpr_kernarg_preload_offset 0
		.amdhsa_user_sgpr_private_segment_size 0
		.amdhsa_uses_dynamic_stack 0
		.amdhsa_system_sgpr_private_segment_wavefront_offset 0
		.amdhsa_system_sgpr_workgroup_id_x 1
		.amdhsa_system_sgpr_workgroup_id_y 1
		.amdhsa_system_sgpr_workgroup_id_z 0
		.amdhsa_system_sgpr_workgroup_info 0
		.amdhsa_system_vgpr_workitem_id 0
		.amdhsa_next_free_vgpr 94
		.amdhsa_next_free_sgpr 82
		.amdhsa_accum_offset 96
		.amdhsa_reserve_vcc 1
		.amdhsa_reserve_flat_scratch 0
		.amdhsa_float_round_mode_32 0
		.amdhsa_float_round_mode_16_64 0
		.amdhsa_float_denorm_mode_32 3
		.amdhsa_float_denorm_mode_16_64 3
		.amdhsa_dx10_clamp 1
		.amdhsa_ieee_mode 1
		.amdhsa_fp16_overflow 0
		.amdhsa_tg_split 0
		.amdhsa_exception_fp_ieee_invalid_op 0
		.amdhsa_exception_fp_denorm_src 0
		.amdhsa_exception_fp_ieee_div_zero 0
		.amdhsa_exception_fp_ieee_overflow 0
		.amdhsa_exception_fp_ieee_underflow 0
		.amdhsa_exception_fp_ieee_inexact 0
		.amdhsa_exception_int_div_zero 0
	.end_amdhsa_kernel
	.section	.text._Z22fa2_decode_mfma_head64IfLb0ELi16ELi16EEvPKfPKvS3_S1_PK14__hip_bfloat16PfiiiiiiiiPKiS9_xPKxS9_S9_i,"axG",@progbits,_Z22fa2_decode_mfma_head64IfLb0ELi16ELi16EEvPKfPKvS3_S1_PK14__hip_bfloat16PfiiiiiiiiPKiS9_xPKxS9_S9_i,comdat
.Lfunc_end25:
	.size	_Z22fa2_decode_mfma_head64IfLb0ELi16ELi16EEvPKfPKvS3_S1_PK14__hip_bfloat16PfiiiiiiiiPKiS9_xPKxS9_S9_i, .Lfunc_end25-_Z22fa2_decode_mfma_head64IfLb0ELi16ELi16EEvPKfPKvS3_S1_PK14__hip_bfloat16PfiiiiiiiiPKiS9_xPKxS9_S9_i
                                        ; -- End function
	.section	.AMDGPU.csdata,"",@progbits
; Kernel info:
; codeLenInByte = 11016
; NumSgprs: 86
; NumVgprs: 94
; NumAgprs: 0
; TotalNumVgprs: 94
; ScratchSize: 0
; MemoryBound: 0
; FloatMode: 240
; IeeeMode: 1
; LDSByteSize: 4992 bytes/workgroup (compile time only)
; SGPRBlocks: 10
; VGPRBlocks: 11
; NumSGPRsForWavesPerEU: 86
; NumVGPRsForWavesPerEU: 94
; AccumOffset: 96
; Occupancy: 5
; WaveLimiterHint : 1
; COMPUTE_PGM_RSRC2:SCRATCH_EN: 0
; COMPUTE_PGM_RSRC2:USER_SGPR: 6
; COMPUTE_PGM_RSRC2:TRAP_HANDLER: 0
; COMPUTE_PGM_RSRC2:TGID_X_EN: 1
; COMPUTE_PGM_RSRC2:TGID_Y_EN: 1
; COMPUTE_PGM_RSRC2:TGID_Z_EN: 0
; COMPUTE_PGM_RSRC2:TIDIG_COMP_CNT: 0
; COMPUTE_PGM_RSRC3_GFX90A:ACCUM_OFFSET: 23
; COMPUTE_PGM_RSRC3_GFX90A:TG_SPLIT: 0
	.section	.text._Z16embed_kernel_vecILi8EEvPK14__hip_bfloat16PKiPfii,"axG",@progbits,_Z16embed_kernel_vecILi8EEvPK14__hip_bfloat16PKiPfii,comdat
	.protected	_Z16embed_kernel_vecILi8EEvPK14__hip_bfloat16PKiPfii ; -- Begin function _Z16embed_kernel_vecILi8EEvPK14__hip_bfloat16PKiPfii
	.globl	_Z16embed_kernel_vecILi8EEvPK14__hip_bfloat16PKiPfii
	.p2align	8
	.type	_Z16embed_kernel_vecILi8EEvPK14__hip_bfloat16PKiPfii,@function
_Z16embed_kernel_vecILi8EEvPK14__hip_bfloat16PKiPfii: ; @_Z16embed_kernel_vecILi8EEvPK14__hip_bfloat16PKiPfii
; %bb.0:
	s_load_dword s1, s[4:5], 0x2c
	s_load_dwordx2 s[16:17], s[4:5], 0x18
	s_mov_b32 s0, s7
	s_waitcnt lgkmcnt(0)
	s_and_b32 s1, s1, 0xffff
	s_mul_i32 s6, s6, s1
	v_add_lshl_u32 v0, s6, v0, 3
	s_cmp_lt_i32 s7, s16
	s_cselect_b64 s[2:3], -1, 0
	v_cmp_gt_i32_e32 vcc, s17, v0
	s_and_b64 s[2:3], s[2:3], vcc
	s_and_saveexec_b64 s[6:7], s[2:3]
	s_cbranch_execz .LBB26_22
; %bb.1:
	s_load_dwordx4 s[12:15], s[4:5], 0x0
	s_load_dwordx2 s[18:19], s[4:5], 0x10
	s_ashr_i32 s1, s0, 31
	s_lshl_b64 s[2:3], s[0:1], 2
	v_ashrrev_i32_e32 v1, 31, v0
	s_waitcnt lgkmcnt(0)
	s_add_u32 s2, s14, s2
	s_addc_u32 s3, s15, s3
	s_load_dword s1, s[2:3], 0x0
	v_lshlrev_b64 v[2:3], 1, v[0:1]
	s_waitcnt lgkmcnt(0)
	s_mul_hi_i32 s3, s1, s17
	s_mul_i32 s2, s1, s17
	s_lshl_b64 s[20:21], s[2:3], 1
	s_add_u32 s1, s12, s20
	v_add_co_u32_e32 v14, vcc, s1, v2
	s_mul_hi_i32 s1, s17, s0
	s_mul_i32 s0, s17, s0
	s_addc_u32 s2, s13, s21
	s_lshl_b64 s[22:23], s[0:1], 2
	v_mov_b32_e32 v4, s2
	s_add_u32 s0, s18, s22
	v_addc_co_u32_e32 v15, vcc, v4, v3, vcc
	s_addc_u32 s1, s19, s23
	v_lshlrev_b64 v[4:5], 2, v[0:1]
	v_mov_b32_e32 v6, s1
	v_add_co_u32_e32 v1, vcc, s0, v4
	v_addc_co_u32_e32 v16, vcc, v6, v5, vcc
	v_sub_u32_e32 v6, s17, v0
	v_ashrrev_i32_e32 v7, 1, v6
	v_cmp_gt_i32_e32 vcc, 8, v6
	v_cndmask_b32_e32 v17, 4, v7, vcc
	v_cmp_lt_i32_e32 vcc, 0, v17
	s_and_saveexec_b64 s[14:15], vcc
	s_cbranch_execz .LBB26_20
; %bb.2:
	v_cmp_ne_u32_e32 vcc, 1, v17
	s_mov_b64 s[0:1], -1
	v_mov_b32_e32 v6, 0
	s_and_saveexec_b64 s[24:25], vcc
	s_cbranch_execz .LBB26_11
; %bb.3:
	v_add_u32_e32 v6, -2, v17
	s_mov_b32 s30, 1
	s_mov_b32 s29, 0
	v_lshrrev_b32_e32 v7, 1, v6
	s_mov_b32 s0, s29
	s_mov_b32 s1, s30
	v_add_u32_e32 v8, 1, v7
	v_cmp_lt_u32_e32 vcc, 5, v6
	v_pk_mov_b32 v[6:7], s[0:1], s[0:1] op_sel:[0,1]
	s_and_saveexec_b64 s[26:27], vcc
	s_cbranch_execz .LBB26_7
; %bb.4:
	v_and_b32_e32 v9, -4, v8
	s_mov_b64 s[34:35], 0
	s_mov_b32 s28, s29
.LBB26_5:                               ; =>This Inner Loop Header: Depth=1
	s_lshl_b64 s[0:1], s[28:29], 2
	s_mov_b32 s31, s29
	s_add_i32 s36, s30, 2
	s_add_i32 s38, s28, 2
	s_mov_b32 s39, s29
	s_mov_b32 s37, s29
	s_add_i32 s40, s30, 4
	s_add_i32 s42, s28, 4
	s_mov_b32 s43, s29
	;; [unrolled: 4-line block ×3, first 2 shown]
	s_mov_b32 s45, s29
	v_mov_b32_e32 v7, s1
	s_lshl_b64 s[10:11], s[30:31], 2
	v_add_co_u32_e32 v6, vcc, s0, v14
	s_lshl_b64 s[2:3], s[38:39], 2
	s_lshl_b64 s[4:5], s[36:37], 2
	s_lshl_b64 s[6:7], s[42:43], 2
	s_lshl_b64 s[8:9], s[40:41], 2
	s_lshl_b64 s[48:49], s[46:47], 2
	s_lshl_b64 s[50:51], s[44:45], 2
	v_addc_co_u32_e32 v7, vcc, v15, v7, vcc
	v_mov_b32_e32 v11, s11
	v_add_co_u32_e64 v26, s[10:11], s10, v14
	v_mov_b32_e32 v13, s3
	v_add_co_u32_e32 v10, vcc, s2, v14
	v_mov_b32_e32 v19, s5
	v_add_co_u32_e64 v12, s[0:1], s4, v14
	v_mov_b32_e32 v21, s7
	v_add_co_u32_e64 v18, s[2:3], s6, v14
	;; [unrolled: 2-line block ×5, first 2 shown]
	v_addc_co_u32_e64 v27, s[10:11], v15, v11, s[10:11]
	global_load_dword v31, v[6:7], off
	v_addc_co_u32_e32 v11, vcc, v15, v13, vcc
	v_addc_co_u32_e64 v13, vcc, v15, v19, s[0:1]
	v_addc_co_u32_e64 v19, vcc, v15, v21, s[2:3]
	;; [unrolled: 1-line block ×5, first 2 shown]
	global_load_dword v33, v[26:27], off
	global_load_dword v34, v[12:13], off
	;; [unrolled: 1-line block ×7, first 2 shown]
	s_lshl_b64 s[0:1], s[28:29], 3
	v_add_u32_e32 v9, -4, v9
	v_mov_b32_e32 v11, s1
	v_add_co_u32_e64 v10, s[0:1], s0, v1
	s_add_i32 s3, s30, 8
	s_add_i32 s2, s28, 8
	s_lshl_b64 s[48:49], s[30:31], 3
	s_lshl_b64 s[4:5], s[38:39], 3
	;; [unrolled: 1-line block ×7, first 2 shown]
	v_cmp_eq_u32_e32 vcc, 0, v9
	v_addc_co_u32_e64 v11, s[0:1], v16, v11, s[0:1]
	v_pk_mov_b32 v[6:7], s[2:3], s[2:3] op_sel:[0,1]
	s_mov_b32 s28, s2
	s_mov_b32 s30, s3
	v_mov_b32_e32 v13, s49
	v_mov_b32_e32 v19, s5
	v_add_co_u32_e64 v12, s[0:1], s4, v1
	v_mov_b32_e32 v21, s7
	v_add_co_u32_e64 v18, s[2:3], s6, v1
	;; [unrolled: 2-line block ×6, first 2 shown]
	s_or_b64 s[34:35], vcc, s[34:35]
	v_add_co_u32_e32 v28, vcc, s48, v1
	v_addc_co_u32_e32 v29, vcc, v16, v13, vcc
	v_addc_co_u32_e64 v13, vcc, v16, v19, s[0:1]
	v_addc_co_u32_e64 v19, vcc, v16, v21, s[2:3]
	;; [unrolled: 1-line block ×6, first 2 shown]
	s_waitcnt vmcnt(7)
	v_lshlrev_b32_e32 v30, 16, v31
	v_and_b32_e32 v31, 0xffff0000, v31
	global_store_dwordx2 v[10:11], v[30:31], off
	s_waitcnt vmcnt(7)
	v_lshlrev_b32_e32 v32, 16, v33
	v_and_b32_e32 v33, 0xffff0000, v33
	s_waitcnt vmcnt(6)
	v_lshlrev_b32_e32 v10, 16, v34
	s_waitcnt vmcnt(5)
	v_lshlrev_b32_e32 v30, 16, v35
	v_and_b32_e32 v11, 0xffff0000, v34
	v_and_b32_e32 v31, 0xffff0000, v35
	s_waitcnt vmcnt(4)
	v_lshlrev_b32_e32 v34, 16, v37
	s_waitcnt vmcnt(3)
	v_lshlrev_b32_e32 v36, 16, v38
	v_and_b32_e32 v35, 0xffff0000, v37
	v_and_b32_e32 v37, 0xffff0000, v38
	s_waitcnt vmcnt(2)
	v_lshlrev_b32_e32 v38, 16, v39
	s_waitcnt vmcnt(1)
	v_lshlrev_b32_e32 v40, 16, v41
	v_and_b32_e32 v39, 0xffff0000, v39
	v_and_b32_e32 v41, 0xffff0000, v41
	global_store_dwordx2 v[28:29], v[32:33], off
	global_store_dwordx2 v[12:13], v[30:31], off
	;; [unrolled: 1-line block ×7, first 2 shown]
	s_andn2_b64 exec, exec, s[34:35]
	s_cbranch_execnz .LBB26_5
; %bb.6:
	s_or_b64 exec, exec, s[34:35]
.LBB26_7:
	s_or_b64 exec, exec, s[26:27]
	v_and_b32_e32 v10, 3, v8
	v_cmp_ne_u32_e32 vcc, 0, v10
	s_and_saveexec_b64 s[2:3], vcc
	s_cbranch_execz .LBB26_10
; %bb.8:
	s_mov_b64 s[4:5], 0
	v_mov_b32_e32 v9, 0
.LBB26_9:                               ; =>This Inner Loop Header: Depth=1
	v_mov_b32_e32 v8, v6
	v_lshlrev_b64 v[18:19], 2, v[8:9]
	v_mov_b32_e32 v12, v7
	v_mov_b32_e32 v13, v9
	v_add_co_u32_e32 v18, vcc, v14, v18
	v_lshlrev_b64 v[20:21], 2, v[12:13]
	v_addc_co_u32_e32 v19, vcc, v15, v19, vcc
	v_add_co_u32_e32 v20, vcc, v14, v20
	v_addc_co_u32_e32 v21, vcc, v15, v21, vcc
	global_load_dword v11, v[20:21], off
	global_load_dword v23, v[18:19], off
	v_lshlrev_b64 v[18:19], 3, v[8:9]
	v_add_u32_e32 v10, -1, v10
	v_add_co_u32_e64 v18, s[0:1], v1, v18
	v_lshlrev_b64 v[12:13], 3, v[12:13]
	v_cmp_eq_u32_e32 vcc, 0, v10
	v_addc_co_u32_e64 v19, s[0:1], v16, v19, s[0:1]
	v_add_u32_e32 v7, 2, v7
	v_add_u32_e32 v6, 2, v6
	v_add_co_u32_e64 v12, s[0:1], v1, v12
	s_or_b64 s[4:5], vcc, s[4:5]
	v_addc_co_u32_e64 v13, s[0:1], v16, v13, s[0:1]
	s_waitcnt vmcnt(1)
	v_lshlrev_b32_e32 v20, 16, v11
	s_waitcnt vmcnt(0)
	v_lshlrev_b32_e32 v22, 16, v23
	v_and_b32_e32 v23, 0xffff0000, v23
	v_and_b32_e32 v21, 0xffff0000, v11
	global_store_dwordx2 v[18:19], v[22:23], off
	global_store_dwordx2 v[12:13], v[20:21], off
	s_andn2_b64 exec, exec, s[4:5]
	s_cbranch_execnz .LBB26_9
.LBB26_10:
	s_or_b64 exec, exec, s[2:3]
	v_and_b32_e32 v6, 0x7ffffffe, v17
	v_cmp_ne_u32_e32 vcc, v17, v6
	s_orn2_b64 s[0:1], vcc, exec
.LBB26_11:
	s_or_b64 exec, exec, s[24:25]
	s_and_saveexec_b64 s[2:3], s[0:1]
	s_xor_b64 s[2:3], exec, s[2:3]
	s_cbranch_execz .LBB26_20
; %bb.12:
	v_sub_u32_e32 v7, v17, v6
	v_and_b32_e32 v9, 3, v7
	v_cmp_ne_u32_e32 vcc, 0, v9
	v_mov_b32_e32 v8, v6
	s_and_saveexec_b64 s[0:1], vcc
	s_cbranch_execz .LBB26_16
; %bb.13:
	v_mov_b32_e32 v7, 0
	v_lshlrev_b64 v[10:11], 3, v[6:7]
	v_mov_b32_e32 v8, s23
	v_add_co_u32_e32 v10, vcc, s22, v10
	v_addc_co_u32_e32 v8, vcc, v8, v11, vcc
	v_add_co_u32_e32 v10, vcc, v10, v4
	v_addc_co_u32_e32 v8, vcc, v8, v5, vcc
	v_mov_b32_e32 v11, s19
	v_add_co_u32_e32 v10, vcc, s18, v10
	v_addc_co_u32_e32 v11, vcc, v11, v8, vcc
	v_lshlrev_b64 v[12:13], 2, v[6:7]
	v_mov_b32_e32 v7, s21
	v_add_co_u32_e32 v8, vcc, s20, v12
	v_addc_co_u32_e32 v7, vcc, v7, v13, vcc
	v_add_co_u32_e32 v8, vcc, v8, v2
	v_addc_co_u32_e32 v7, vcc, v7, v3, vcc
	v_mov_b32_e32 v13, s13
	v_add_co_u32_e32 v12, vcc, s12, v8
	v_addc_co_u32_e32 v13, vcc, v13, v7, vcc
	v_add_u32_e32 v8, v6, v9
	s_mov_b64 s[2:3], 0
.LBB26_14:                              ; =>This Inner Loop Header: Depth=1
	global_load_dword v7, v[12:13], off
	v_add_co_u32_e32 v12, vcc, 4, v12
	v_addc_co_u32_e32 v13, vcc, 0, v13, vcc
	v_add_u32_e32 v9, -1, v9
	v_cmp_eq_u32_e32 vcc, 0, v9
	s_or_b64 s[2:3], vcc, s[2:3]
	s_waitcnt vmcnt(0)
	v_and_b32_e32 v19, 0xffff0000, v7
	v_lshlrev_b32_e32 v18, 16, v7
	global_store_dwordx2 v[10:11], v[18:19], off
	v_add_co_u32_e32 v10, vcc, 8, v10
	v_addc_co_u32_e32 v11, vcc, 0, v11, vcc
	s_andn2_b64 exec, exec, s[2:3]
	s_cbranch_execnz .LBB26_14
; %bb.15:
	s_or_b64 exec, exec, s[2:3]
.LBB26_16:
	s_or_b64 exec, exec, s[0:1]
	v_sub_u32_e32 v6, v6, v17
	v_cmp_gt_u32_e32 vcc, -3, v6
	s_and_saveexec_b64 s[0:1], vcc
	s_cbranch_execz .LBB26_19
; %bb.17:
	v_mov_b32_e32 v9, 0
	v_lshlrev_b64 v[10:11], 3, v[8:9]
	v_mov_b32_e32 v7, s23
	v_add_co_u32_e32 v10, vcc, s22, v10
	v_addc_co_u32_e32 v7, vcc, v7, v11, vcc
	v_add_co_u32_e32 v4, vcc, v10, v4
	v_addc_co_u32_e32 v5, vcc, v7, v5, vcc
	v_mov_b32_e32 v7, s19
	v_add_co_u32_e32 v4, vcc, s18, v4
	v_addc_co_u32_e32 v5, vcc, v5, v7, vcc
	v_add_co_u32_e32 v4, vcc, 16, v4
	v_sub_u32_e32 v6, v17, v8
	v_addc_co_u32_e32 v5, vcc, 0, v5, vcc
	v_lshlrev_b64 v[8:9], 2, v[8:9]
	v_mov_b32_e32 v7, s21
	v_add_co_u32_e32 v8, vcc, s20, v8
	v_addc_co_u32_e32 v7, vcc, v7, v9, vcc
	v_add_co_u32_e32 v2, vcc, v8, v2
	v_addc_co_u32_e32 v3, vcc, v7, v3, vcc
	v_mov_b32_e32 v7, s13
	v_add_co_u32_e32 v2, vcc, s12, v2
	v_addc_co_u32_e32 v3, vcc, v3, v7, vcc
	v_add_co_u32_e32 v2, vcc, 8, v2
	v_addc_co_u32_e32 v3, vcc, 0, v3, vcc
	s_mov_b64 s[2:3], 0
.LBB26_18:                              ; =>This Inner Loop Header: Depth=1
	global_load_dwordx4 v[8:11], v[2:3], off offset:-8
	v_add_co_u32_e32 v2, vcc, 16, v2
	v_add_u32_e32 v6, -4, v6
	v_addc_co_u32_e32 v3, vcc, 0, v3, vcc
	v_cmp_eq_u32_e32 vcc, 0, v6
	s_or_b64 s[2:3], vcc, s[2:3]
	s_waitcnt vmcnt(0)
	v_and_b32_e32 v19, 0xffff0000, v8
	v_lshlrev_b32_e32 v18, 16, v8
	v_and_b32_e32 v21, 0xffff0000, v9
	v_lshlrev_b32_e32 v20, 16, v9
	;; [unrolled: 2-line block ×4, first 2 shown]
	global_store_dwordx4 v[4:5], v[18:21], off offset:-16
	global_store_dwordx4 v[4:5], v[22:25], off
	v_add_co_u32_e32 v4, vcc, 32, v4
	v_addc_co_u32_e32 v5, vcc, 0, v5, vcc
	s_andn2_b64 exec, exec, s[2:3]
	s_cbranch_execnz .LBB26_18
.LBB26_19:
	s_or_b64 exec, exec, s[0:1]
.LBB26_20:
	s_or_b64 exec, exec, s[14:15]
	v_lshlrev_b32_e32 v2, 1, v17
	v_add_u32_e32 v0, v2, v0
	v_cmp_gt_i32_e32 vcc, 4, v17
	v_cmp_gt_i32_e64 s[0:1], s17, v0
	s_and_b64 s[0:1], vcc, s[0:1]
	s_and_b64 exec, exec, s[0:1]
	s_cbranch_execz .LBB26_22
; %bb.21:
	v_ashrrev_i32_e32 v3, 31, v2
	v_lshlrev_b64 v[4:5], 1, v[2:3]
	v_add_co_u32_e32 v4, vcc, v14, v4
	v_addc_co_u32_e32 v5, vcc, v15, v5, vcc
	global_load_ushort v0, v[4:5], off
	v_lshlrev_b64 v[2:3], 2, v[2:3]
	s_waitcnt vmcnt(0)
	v_lshlrev_b32_e32 v4, 16, v0
	v_add_co_u32_e32 v0, vcc, v1, v2
	v_addc_co_u32_e32 v1, vcc, v16, v3, vcc
	global_store_dword v[0:1], v4, off
.LBB26_22:
	s_endpgm
	.section	.rodata,"a",@progbits
	.p2align	6, 0x0
	.amdhsa_kernel _Z16embed_kernel_vecILi8EEvPK14__hip_bfloat16PKiPfii
		.amdhsa_group_segment_fixed_size 0
		.amdhsa_private_segment_fixed_size 0
		.amdhsa_kernarg_size 288
		.amdhsa_user_sgpr_count 6
		.amdhsa_user_sgpr_private_segment_buffer 1
		.amdhsa_user_sgpr_dispatch_ptr 0
		.amdhsa_user_sgpr_queue_ptr 0
		.amdhsa_user_sgpr_kernarg_segment_ptr 1
		.amdhsa_user_sgpr_dispatch_id 0
		.amdhsa_user_sgpr_flat_scratch_init 0
		.amdhsa_user_sgpr_kernarg_preload_length 0
		.amdhsa_user_sgpr_kernarg_preload_offset 0
		.amdhsa_user_sgpr_private_segment_size 0
		.amdhsa_uses_dynamic_stack 0
		.amdhsa_system_sgpr_private_segment_wavefront_offset 0
		.amdhsa_system_sgpr_workgroup_id_x 1
		.amdhsa_system_sgpr_workgroup_id_y 1
		.amdhsa_system_sgpr_workgroup_id_z 0
		.amdhsa_system_sgpr_workgroup_info 0
		.amdhsa_system_vgpr_workitem_id 0
		.amdhsa_next_free_vgpr 42
		.amdhsa_next_free_sgpr 52
		.amdhsa_accum_offset 44
		.amdhsa_reserve_vcc 1
		.amdhsa_reserve_flat_scratch 0
		.amdhsa_float_round_mode_32 0
		.amdhsa_float_round_mode_16_64 0
		.amdhsa_float_denorm_mode_32 3
		.amdhsa_float_denorm_mode_16_64 3
		.amdhsa_dx10_clamp 1
		.amdhsa_ieee_mode 1
		.amdhsa_fp16_overflow 0
		.amdhsa_tg_split 0
		.amdhsa_exception_fp_ieee_invalid_op 0
		.amdhsa_exception_fp_denorm_src 0
		.amdhsa_exception_fp_ieee_div_zero 0
		.amdhsa_exception_fp_ieee_overflow 0
		.amdhsa_exception_fp_ieee_underflow 0
		.amdhsa_exception_fp_ieee_inexact 0
		.amdhsa_exception_int_div_zero 0
	.end_amdhsa_kernel
	.section	.text._Z16embed_kernel_vecILi8EEvPK14__hip_bfloat16PKiPfii,"axG",@progbits,_Z16embed_kernel_vecILi8EEvPK14__hip_bfloat16PKiPfii,comdat
.Lfunc_end26:
	.size	_Z16embed_kernel_vecILi8EEvPK14__hip_bfloat16PKiPfii, .Lfunc_end26-_Z16embed_kernel_vecILi8EEvPK14__hip_bfloat16PKiPfii
                                        ; -- End function
	.section	.AMDGPU.csdata,"",@progbits
; Kernel info:
; codeLenInByte = 1804
; NumSgprs: 56
; NumVgprs: 42
; NumAgprs: 0
; TotalNumVgprs: 42
; ScratchSize: 0
; MemoryBound: 0
; FloatMode: 240
; IeeeMode: 1
; LDSByteSize: 0 bytes/workgroup (compile time only)
; SGPRBlocks: 6
; VGPRBlocks: 5
; NumSGPRsForWavesPerEU: 56
; NumVGPRsForWavesPerEU: 42
; AccumOffset: 44
; Occupancy: 8
; WaveLimiterHint : 1
; COMPUTE_PGM_RSRC2:SCRATCH_EN: 0
; COMPUTE_PGM_RSRC2:USER_SGPR: 6
; COMPUTE_PGM_RSRC2:TRAP_HANDLER: 0
; COMPUTE_PGM_RSRC2:TGID_X_EN: 1
; COMPUTE_PGM_RSRC2:TGID_Y_EN: 1
; COMPUTE_PGM_RSRC2:TGID_Z_EN: 0
; COMPUTE_PGM_RSRC2:TIDIG_COMP_CNT: 0
; COMPUTE_PGM_RSRC3_GFX90A:ACCUM_OFFSET: 10
; COMPUTE_PGM_RSRC3_GFX90A:TG_SPLIT: 0
	.section	.text._Z16embed_kernel_vecILi2EEvPK14__hip_bfloat16PKiPfii,"axG",@progbits,_Z16embed_kernel_vecILi2EEvPK14__hip_bfloat16PKiPfii,comdat
	.protected	_Z16embed_kernel_vecILi2EEvPK14__hip_bfloat16PKiPfii ; -- Begin function _Z16embed_kernel_vecILi2EEvPK14__hip_bfloat16PKiPfii
	.globl	_Z16embed_kernel_vecILi2EEvPK14__hip_bfloat16PKiPfii
	.p2align	8
	.type	_Z16embed_kernel_vecILi2EEvPK14__hip_bfloat16PKiPfii,@function
_Z16embed_kernel_vecILi2EEvPK14__hip_bfloat16PKiPfii: ; @_Z16embed_kernel_vecILi2EEvPK14__hip_bfloat16PKiPfii
; %bb.0:
	s_load_dword s2, s[4:5], 0x2c
	s_load_dwordx2 s[0:1], s[4:5], 0x18
	s_mov_b32 s12, s7
	s_waitcnt lgkmcnt(0)
	s_and_b32 s2, s2, 0xffff
	s_mul_i32 s6, s6, s2
	v_add_lshl_u32 v4, s6, v0, 1
	s_cmp_lt_i32 s7, s0
	s_cselect_b64 s[2:3], -1, 0
	v_cmp_gt_i32_e32 vcc, s1, v4
	s_and_b64 s[2:3], s[2:3], vcc
	s_and_saveexec_b64 s[6:7], s[2:3]
	s_cbranch_execz .LBB27_11
; %bb.1:
	s_load_dwordx4 s[8:11], s[4:5], 0x0
	s_load_dwordx2 s[2:3], s[4:5], 0x10
	s_ashr_i32 s13, s12, 31
	s_lshl_b64 s[4:5], s[12:13], 2
	v_ashrrev_i32_e32 v5, 31, v4
	s_waitcnt lgkmcnt(0)
	s_add_u32 s4, s10, s4
	s_addc_u32 s5, s11, s5
	s_load_dword s0, s[4:5], 0x0
	v_lshlrev_b64 v[0:1], 1, v[4:5]
	s_waitcnt lgkmcnt(0)
	s_mul_hi_i32 s5, s0, s1
	s_mul_i32 s4, s0, s1
	s_lshl_b64 s[10:11], s[4:5], 1
	s_add_u32 s0, s8, s10
	s_addc_u32 s4, s9, s11
	v_mov_b32_e32 v2, s4
	s_mul_hi_i32 s5, s1, s12
	s_mul_i32 s4, s1, s12
	s_lshl_b64 s[6:7], s[4:5], 2
	v_add_co_u32_e32 v6, vcc, s0, v0
	s_add_u32 s0, s2, s6
	v_addc_co_u32_e32 v7, vcc, v2, v1, vcc
	s_addc_u32 s4, s3, s7
	v_lshlrev_b64 v[2:3], 2, v[4:5]
	v_mov_b32_e32 v5, s4
	v_add_co_u32_e32 v8, vcc, s0, v2
	v_addc_co_u32_e32 v9, vcc, v5, v3, vcc
	v_sub_u32_e32 v4, s1, v4
	v_ashrrev_i32_e32 v5, 1, v4
	v_cmp_gt_i32_e32 vcc, 2, v4
	v_cndmask_b32_e32 v10, 1, v5, vcc
	v_cmp_lt_i32_e32 vcc, 0, v10
	s_and_saveexec_b64 s[4:5], vcc
	s_cbranch_execz .LBB27_9
; %bb.2:
	s_mov_b32 s14, 1
	v_cmp_ne_u32_e32 vcc, 1, v10
	s_mov_b64 s[0:1], -1
	v_mov_b32_e32 v4, 0
	s_and_saveexec_b64 s[12:13], vcc
	s_cbranch_execz .LBB27_6
; %bb.3:
	v_and_b32_e32 v4, 0x7ffffffe, v10
	s_mov_b32 s19, 0
	s_mov_b64 s[16:17], 0
	v_mov_b32_e32 v5, v4
	s_mov_b32 s18, s19
.LBB27_4:                               ; =>This Inner Loop Header: Depth=1
	s_lshl_b64 s[0:1], s[18:19], 2
	s_mov_b32 s15, s19
	v_mov_b32_e32 v11, s1
	v_add_co_u32_e32 v12, vcc, s0, v6
	s_lshl_b64 s[20:21], s[14:15], 2
	v_addc_co_u32_e32 v13, vcc, v7, v11, vcc
	v_mov_b32_e32 v11, s21
	v_add_co_u32_e32 v14, vcc, s20, v6
	global_load_dword v17, v[12:13], off
	v_addc_co_u32_e32 v15, vcc, v7, v11, vcc
	global_load_dword v11, v[14:15], off
	s_lshl_b64 s[0:1], s[18:19], 3
	v_add_u32_e32 v5, -2, v5
	s_add_i32 s18, s18, 2
	v_mov_b32_e32 v13, s1
	s_lshl_b64 s[20:21], s[14:15], 3
	s_add_i32 s14, s14, 2
	v_cmp_eq_u32_e32 vcc, 0, v5
	v_add_co_u32_e64 v12, s[0:1], s0, v8
	v_addc_co_u32_e64 v13, s[0:1], v9, v13, s[0:1]
	v_mov_b32_e32 v15, s21
	s_or_b64 s[16:17], vcc, s[16:17]
	v_add_co_u32_e32 v14, vcc, s20, v8
	v_addc_co_u32_e32 v15, vcc, v9, v15, vcc
	s_waitcnt vmcnt(1)
	v_lshlrev_b32_e32 v16, 16, v17
	v_and_b32_e32 v17, 0xffff0000, v17
	s_waitcnt vmcnt(0)
	v_lshlrev_b32_e32 v18, 16, v11
	v_and_b32_e32 v19, 0xffff0000, v11
	global_store_dwordx2 v[12:13], v[16:17], off
	global_store_dwordx2 v[14:15], v[18:19], off
	s_andn2_b64 exec, exec, s[16:17]
	s_cbranch_execnz .LBB27_4
; %bb.5:
	s_or_b64 exec, exec, s[16:17]
	v_cmp_ne_u32_e32 vcc, v10, v4
	s_orn2_b64 s[0:1], vcc, exec
.LBB27_6:
	s_or_b64 exec, exec, s[12:13]
	s_and_b64 exec, exec, s[0:1]
	s_cbranch_execz .LBB27_9
; %bb.7:
	v_mov_b32_e32 v5, 0
	v_lshlrev_b64 v[12:13], 2, v[4:5]
	v_mov_b32_e32 v14, s11
	v_add_co_u32_e32 v12, vcc, s10, v12
	v_addc_co_u32_e32 v13, vcc, v14, v13, vcc
	v_add_co_u32_e32 v0, vcc, v12, v0
	v_addc_co_u32_e32 v1, vcc, v13, v1, vcc
	v_mov_b32_e32 v12, s9
	v_add_co_u32_e32 v0, vcc, s8, v0
	v_sub_u32_e32 v11, v10, v4
	v_addc_co_u32_e32 v1, vcc, v12, v1, vcc
	v_lshlrev_b64 v[4:5], 3, v[4:5]
	v_mov_b32_e32 v12, s7
	v_add_co_u32_e32 v4, vcc, s6, v4
	v_addc_co_u32_e32 v5, vcc, v12, v5, vcc
	v_add_co_u32_e32 v2, vcc, v4, v2
	v_addc_co_u32_e32 v3, vcc, v5, v3, vcc
	v_mov_b32_e32 v4, s3
	v_add_co_u32_e32 v2, vcc, s2, v2
	v_addc_co_u32_e32 v3, vcc, v4, v3, vcc
	s_mov_b64 s[0:1], 0
.LBB27_8:                               ; =>This Inner Loop Header: Depth=1
	global_load_dword v4, v[0:1], off
	v_add_co_u32_e32 v0, vcc, 4, v0
	v_add_u32_e32 v11, -1, v11
	v_addc_co_u32_e32 v1, vcc, 0, v1, vcc
	v_cmp_eq_u32_e32 vcc, 0, v11
	s_or_b64 s[0:1], vcc, s[0:1]
	s_waitcnt vmcnt(0)
	v_and_b32_e32 v5, 0xffff0000, v4
	v_lshlrev_b32_e32 v4, 16, v4
	global_store_dwordx2 v[2:3], v[4:5], off
	v_add_co_u32_e32 v2, vcc, 8, v2
	v_addc_co_u32_e32 v3, vcc, 0, v3, vcc
	s_andn2_b64 exec, exec, s[0:1]
	s_cbranch_execnz .LBB27_8
.LBB27_9:
	s_or_b64 exec, exec, s[4:5]
	v_cmp_gt_i32_e32 vcc, 1, v10
	s_and_b64 exec, exec, vcc
	s_cbranch_execz .LBB27_11
; %bb.10:
	v_lshlrev_b32_e32 v0, 1, v10
	v_ashrrev_i32_e32 v1, 31, v0
	v_lshlrev_b64 v[2:3], 1, v[0:1]
	v_add_co_u32_e32 v2, vcc, v6, v2
	v_addc_co_u32_e32 v3, vcc, v7, v3, vcc
	global_load_ushort v2, v[2:3], off
	v_lshlrev_b64 v[0:1], 2, v[0:1]
	v_add_co_u32_e32 v0, vcc, v8, v0
	v_addc_co_u32_e32 v1, vcc, v9, v1, vcc
	s_waitcnt vmcnt(0)
	v_lshlrev_b32_e32 v2, 16, v2
	global_store_dword v[0:1], v2, off
.LBB27_11:
	s_endpgm
	.section	.rodata,"a",@progbits
	.p2align	6, 0x0
	.amdhsa_kernel _Z16embed_kernel_vecILi2EEvPK14__hip_bfloat16PKiPfii
		.amdhsa_group_segment_fixed_size 0
		.amdhsa_private_segment_fixed_size 0
		.amdhsa_kernarg_size 288
		.amdhsa_user_sgpr_count 6
		.amdhsa_user_sgpr_private_segment_buffer 1
		.amdhsa_user_sgpr_dispatch_ptr 0
		.amdhsa_user_sgpr_queue_ptr 0
		.amdhsa_user_sgpr_kernarg_segment_ptr 1
		.amdhsa_user_sgpr_dispatch_id 0
		.amdhsa_user_sgpr_flat_scratch_init 0
		.amdhsa_user_sgpr_kernarg_preload_length 0
		.amdhsa_user_sgpr_kernarg_preload_offset 0
		.amdhsa_user_sgpr_private_segment_size 0
		.amdhsa_uses_dynamic_stack 0
		.amdhsa_system_sgpr_private_segment_wavefront_offset 0
		.amdhsa_system_sgpr_workgroup_id_x 1
		.amdhsa_system_sgpr_workgroup_id_y 1
		.amdhsa_system_sgpr_workgroup_id_z 0
		.amdhsa_system_sgpr_workgroup_info 0
		.amdhsa_system_vgpr_workitem_id 0
		.amdhsa_next_free_vgpr 20
		.amdhsa_next_free_sgpr 22
		.amdhsa_accum_offset 20
		.amdhsa_reserve_vcc 1
		.amdhsa_reserve_flat_scratch 0
		.amdhsa_float_round_mode_32 0
		.amdhsa_float_round_mode_16_64 0
		.amdhsa_float_denorm_mode_32 3
		.amdhsa_float_denorm_mode_16_64 3
		.amdhsa_dx10_clamp 1
		.amdhsa_ieee_mode 1
		.amdhsa_fp16_overflow 0
		.amdhsa_tg_split 0
		.amdhsa_exception_fp_ieee_invalid_op 0
		.amdhsa_exception_fp_denorm_src 0
		.amdhsa_exception_fp_ieee_div_zero 0
		.amdhsa_exception_fp_ieee_overflow 0
		.amdhsa_exception_fp_ieee_underflow 0
		.amdhsa_exception_fp_ieee_inexact 0
		.amdhsa_exception_int_div_zero 0
	.end_amdhsa_kernel
	.section	.text._Z16embed_kernel_vecILi2EEvPK14__hip_bfloat16PKiPfii,"axG",@progbits,_Z16embed_kernel_vecILi2EEvPK14__hip_bfloat16PKiPfii,comdat
.Lfunc_end27:
	.size	_Z16embed_kernel_vecILi2EEvPK14__hip_bfloat16PKiPfii, .Lfunc_end27-_Z16embed_kernel_vecILi2EEvPK14__hip_bfloat16PKiPfii
                                        ; -- End function
	.section	.AMDGPU.csdata,"",@progbits
; Kernel info:
; codeLenInByte = 712
; NumSgprs: 26
; NumVgprs: 20
; NumAgprs: 0
; TotalNumVgprs: 20
; ScratchSize: 0
; MemoryBound: 0
; FloatMode: 240
; IeeeMode: 1
; LDSByteSize: 0 bytes/workgroup (compile time only)
; SGPRBlocks: 3
; VGPRBlocks: 2
; NumSGPRsForWavesPerEU: 26
; NumVGPRsForWavesPerEU: 20
; AccumOffset: 20
; Occupancy: 8
; WaveLimiterHint : 1
; COMPUTE_PGM_RSRC2:SCRATCH_EN: 0
; COMPUTE_PGM_RSRC2:USER_SGPR: 6
; COMPUTE_PGM_RSRC2:TRAP_HANDLER: 0
; COMPUTE_PGM_RSRC2:TGID_X_EN: 1
; COMPUTE_PGM_RSRC2:TGID_Y_EN: 1
; COMPUTE_PGM_RSRC2:TGID_Z_EN: 0
; COMPUTE_PGM_RSRC2:TIDIG_COMP_CNT: 0
; COMPUTE_PGM_RSRC3_GFX90A:ACCUM_OFFSET: 4
; COMPUTE_PGM_RSRC3_GFX90A:TG_SPLIT: 0
	.section	.text._Z16split_qkv_kernelILi4EEvPKfPfPvS3_iiiiiPKiiS5_xiiPKxS5_S5_,"axG",@progbits,_Z16split_qkv_kernelILi4EEvPKfPfPvS3_iiiiiPKiiS5_xiiPKxS5_S5_,comdat
	.protected	_Z16split_qkv_kernelILi4EEvPKfPfPvS3_iiiiiPKiiS5_xiiPKxS5_S5_ ; -- Begin function _Z16split_qkv_kernelILi4EEvPKfPfPvS3_iiiiiPKiiS5_xiiPKxS5_S5_
	.globl	_Z16split_qkv_kernelILi4EEvPKfPfPvS3_iiiiiPKiiS5_xiiPKxS5_S5_
	.p2align	8
	.type	_Z16split_qkv_kernelILi4EEvPKfPfPvS3_iiiiiPKiiS5_xiiPKxS5_S5_,@function
_Z16split_qkv_kernelILi4EEvPKfPfPvS3_iiiiiPKiiS5_xiiPKxS5_S5_: ; @_Z16split_qkv_kernelILi4EEvPKfPfPvS3_iiiiiPKiiS5_xiiPKxS5_S5_
; %bb.0:
	s_load_dwordx4 s[0:3], s[4:5], 0x20
	s_waitcnt lgkmcnt(0)
	s_cmp_ge_i32 s7, s0
	s_cbranch_scc1 .LBB28_57
; %bb.1:
	s_load_dwordx2 s[14:15], s[4:5], 0x0
	s_load_dword s12, s[4:5], 0x30
	s_load_dwordx2 s[18:19], s[4:5], 0x70
	s_load_dwordx4 s[20:23], s[4:5], 0x60
	s_load_dwordx2 s[24:25], s[4:5], 0x48
	s_load_dwordx2 s[26:27], s[4:5], 0x38
	s_load_dword s16, s[4:5], 0x84
	s_waitcnt lgkmcnt(0)
	s_ashr_i32 s13, s12, 31
	s_lshl_b64 s[8:9], s[12:13], 3
	s_add_u32 s8, s20, s8
	s_addc_u32 s9, s21, s9
	s_lshl_b64 s[12:13], s[12:13], 2
	s_add_u32 s20, s22, s12
	s_addc_u32 s21, s23, s13
	s_mov_b32 s10, s7
	s_add_u32 s12, s18, s12
	s_addc_u32 s13, s19, s13
	s_ashr_i32 s11, s10, 31
	s_load_dword s0, s[12:13], 0x0
	s_lshl_b64 s[12:13], s[10:11], 2
	s_add_u32 s18, s26, s12
	s_addc_u32 s19, s27, s13
	s_load_dword s7, s[20:21], 0x0
	s_load_dword s11, s[18:19], 0x0
	s_add_u32 s12, s24, s12
	s_addc_u32 s13, s25, s13
	s_waitcnt lgkmcnt(0)
	s_cmp_eq_u32 s0, 0
	s_cbranch_scc1 .LBB28_3
; %bb.2:
	s_abs_i32 s0, s7
	v_cvt_f32_u32_e32 v1, s0
	s_sub_i32 s18, 0, s0
	s_ashr_i32 s17, s11, 31
	s_abs_i32 s11, s11
	v_rcp_iflag_f32_e32 v1, v1
	v_mul_f32_e32 v1, 0x4f7ffffe, v1
	v_cvt_u32_f32_e32 v1, v1
	v_readfirstlane_b32 s19, v1
	s_mul_i32 s18, s18, s19
	s_mul_hi_u32 s18, s19, s18
	s_add_i32 s19, s19, s18
	s_mul_hi_u32 s18, s11, s19
	s_mul_i32 s18, s18, s0
	s_sub_i32 s11, s11, s18
	s_sub_i32 s18, s11, s0
	s_cmp_ge_u32 s11, s0
	s_cselect_b32 s11, s18, s11
	s_sub_i32 s18, s11, s0
	s_cmp_ge_u32 s11, s0
	s_cselect_b32 s0, s18, s11
	s_xor_b32 s0, s0, s17
	s_sub_i32 s11, s0, s17
.LBB28_3:
	s_lshl_b32 s3, s3, 1
	s_mul_i32 s0, s2, s1
	s_add_i32 s2, s3, s2
	s_mul_i32 s1, s2, s1
	s_and_b32 s2, 0xffff, s16
	s_mul_i32 s6, s6, s2
	s_mul_hi_i32 s3, s1, s10
	s_mul_i32 s2, s1, s10
	v_add_u32_e32 v2, s6, v0
	s_lshl_b64 s[2:3], s[2:3], 2
	s_add_u32 s6, s14, s2
	v_lshlrev_b32_e32 v0, 2, v2
	s_addc_u32 s14, s15, s3
	s_ashr_i32 s1, s0, 31
	v_cmp_gt_i32_e32 vcc, s0, v0
	s_and_saveexec_b64 s[2:3], vcc
	s_cbranch_execz .LBB28_5
; %bb.4:
	v_ashrrev_i32_e32 v3, 31, v2
	v_lshlrev_b64 v[6:7], 4, v[2:3]
	v_mov_b32_e32 v1, s14
	v_add_co_u32_e32 v2, vcc, s6, v6
	v_addc_co_u32_e32 v3, vcc, v1, v7, vcc
	global_load_dwordx4 v[2:5], v[2:3], off
	s_load_dwordx2 s[16:17], s[4:5], 0x8
	s_mul_hi_i32 s19, s0, s10
	s_mul_i32 s18, s0, s10
	s_lshl_b64 s[18:19], s[18:19], 2
	s_waitcnt lgkmcnt(0)
	s_add_u32 s10, s16, s18
	s_addc_u32 s15, s17, s19
	v_mov_b32_e32 v1, s15
	v_add_co_u32_e32 v6, vcc, s10, v6
	v_addc_co_u32_e32 v7, vcc, v1, v7, vcc
	s_waitcnt vmcnt(0)
	global_store_dwordx4 v[6:7], v[2:5], off
.LBB28_5:
	s_or_b64 exec, exec, s[2:3]
	s_load_dwordx2 s[2:3], s[4:5], 0x58
	s_waitcnt lgkmcnt(0)
	v_cmp_gt_i32_e32 vcc, s2, v0
	s_and_saveexec_b64 s[16:17], vcc
	s_cbranch_execz .LBB28_57
; %bb.6:
	s_load_dwordx4 s[16:19], s[4:5], 0x10
	s_load_dwordx2 s[20:21], s[8:9], 0x0
	s_load_dword s10, s[12:13], 0x0
	s_cmp_lg_u32 s3, 0
	s_cselect_b64 s[4:5], -1, 0
	s_ashr_i32 s13, s2, 31
	s_mov_b32 s12, s2
	s_waitcnt lgkmcnt(0)
	s_mul_hi_i32 s8, s10, s7
	s_mul_i32 s10, s10, s7
	s_ashr_i32 s7, s11, 31
	s_add_u32 s9, s10, s11
	s_addc_u32 s7, s8, s7
	s_mul_i32 s8, s9, s13
	s_mul_hi_u32 s10, s9, s2
	s_add_i32 s8, s10, s8
	s_mul_i32 s7, s7, s2
	s_add_i32 s7, s8, s7
	s_mul_i32 s9, s9, s2
	s_add_u32 s8, s9, s20
	s_addc_u32 s9, s7, s21
	s_cmp_eq_u32 s3, 0
	s_cselect_b64 s[10:11], -1, 0
	s_and_b64 vcc, s[10:11], exec
	s_cselect_b32 s3, 2, 1
	s_lshl_b64 s[10:11], s[8:9], s3
	s_add_u32 s8, s16, s10
	s_addc_u32 s9, s17, s11
	s_add_u32 s3, s18, s10
	s_addc_u32 s10, s19, s11
	s_lshl_b64 s[0:1], s[0:1], 2
	s_add_u32 s6, s6, s0
	s_addc_u32 s7, s14, s1
	s_lshl_b64 s[0:1], s[12:13], 2
	v_ashrrev_i32_e32 v1, 31, v0
	s_add_u32 s11, s6, s0
	v_lshlrev_b64 v[2:3], 2, v[0:1]
	s_addc_u32 s12, s7, s1
	v_mov_b32_e32 v5, s7
	v_add_co_u32_e64 v4, s[0:1], s6, v2
	v_addc_co_u32_e64 v5, s[0:1], v5, v3, s[0:1]
	s_mov_b64 s[0:1], -1
	s_cbranch_vccnz .LBB28_16
; %bb.7:
	global_load_dword v6, v[4:5], off
	s_mov_b32 s0, 0x7f800000
                                        ; implicit-def: $vgpr8
	s_waitcnt vmcnt(0)
	v_and_b32_e32 v7, 0x7f800000, v6
	v_cmp_ne_u32_e32 vcc, s0, v7
	s_and_saveexec_b64 s[0:1], vcc
	s_xor_b64 s[0:1], exec, s[0:1]
; %bb.8:
	v_bfe_u32 v7, v6, 16, 1
	s_movk_i32 s6, 0x7fff
	v_add3_u32 v8, v6, v7, s6
                                        ; implicit-def: $vgpr6
; %bb.9:
	s_andn2_saveexec_b64 s[0:1], s[0:1]
; %bb.10:
	v_mov_b32_e32 v7, 0
	v_or_b32_e32 v8, 0x10000, v6
	v_cmp_eq_u32_sdwa vcc, v6, v7 src0_sel:WORD_0 src1_sel:DWORD
	v_cndmask_b32_e32 v8, v8, v6, vcc
; %bb.11:
	s_or_b64 exec, exec, s[0:1]
	v_mov_b32_e32 v7, s12
	v_add_co_u32_e32 v6, vcc, s11, v2
	v_addc_co_u32_e32 v7, vcc, v7, v3, vcc
	global_load_dword v9, v[6:7], off
	v_lshlrev_b64 v[6:7], 1, v[0:1]
	v_mov_b32_e32 v11, s9
	v_add_co_u32_e32 v10, vcc, s8, v6
	v_addc_co_u32_e32 v11, vcc, v11, v7, vcc
	global_store_short_d16_hi v[10:11], v8, off
	s_mov_b32 s0, 0x7f800000
	s_waitcnt vmcnt(1)
	v_and_b32_e32 v8, 0x7f800000, v9
	v_cmp_ne_u32_e32 vcc, s0, v8
                                        ; implicit-def: $vgpr8
	s_and_saveexec_b64 s[0:1], vcc
	s_xor_b64 s[0:1], exec, s[0:1]
; %bb.12:
	v_bfe_u32 v8, v9, 16, 1
	s_movk_i32 s6, 0x7fff
	v_add3_u32 v8, v9, v8, s6
                                        ; implicit-def: $vgpr9
; %bb.13:
	s_andn2_saveexec_b64 s[0:1], s[0:1]
; %bb.14:
	v_mov_b32_e32 v8, 0
	v_or_b32_e32 v10, 0x10000, v9
	v_cmp_eq_u32_sdwa vcc, v9, v8 src0_sel:WORD_0 src1_sel:DWORD
	v_cndmask_b32_e32 v8, v10, v9, vcc
; %bb.15:
	s_or_b64 exec, exec, s[0:1]
	v_mov_b32_e32 v9, s10
	v_add_co_u32_e32 v6, vcc, s3, v6
	v_addc_co_u32_e32 v7, vcc, v9, v7, vcc
	s_mov_b64 s[0:1], 0
	global_store_short_d16_hi v[6:7], v8, off
.LBB28_16:
	s_and_b64 vcc, exec, s[0:1]
	s_cbranch_vccz .LBB28_18
; %bb.17:
	global_load_dword v8, v[4:5], off
	v_mov_b32_e32 v7, s12
	v_add_co_u32_e32 v6, vcc, s11, v2
	v_addc_co_u32_e32 v7, vcc, v7, v3, vcc
	global_load_dword v9, v[6:7], off
	v_mov_b32_e32 v7, s9
	v_add_co_u32_e32 v6, vcc, s8, v2
	v_addc_co_u32_e32 v7, vcc, v7, v3, vcc
	v_mov_b32_e32 v10, s10
	s_waitcnt vmcnt(1)
	global_store_dword v[6:7], v8, off
	v_add_co_u32_e32 v6, vcc, s3, v2
	v_addc_co_u32_e32 v7, vcc, v10, v3, vcc
	s_waitcnt vmcnt(1)
	global_store_dword v[6:7], v9, off
.LBB28_18:
	v_or_b32_e32 v6, 1, v0
	v_cmp_gt_i32_e32 vcc, s2, v6
	v_cndmask_b32_e64 v6, 0, 1, s[4:5]
	v_cmp_ne_u32_e64 s[0:1], 1, v6
	s_and_saveexec_b64 s[4:5], vcc
	s_cbranch_execz .LBB28_31
; %bb.19:
	s_and_b64 vcc, exec, s[0:1]
	s_mov_b64 s[6:7], -1
	s_cbranch_vccnz .LBB28_29
; %bb.20:
	global_load_dword v6, v[4:5], off offset:4
	s_mov_b32 s6, 0x7f800000
                                        ; implicit-def: $vgpr8
	s_waitcnt vmcnt(0)
	v_and_b32_e32 v7, 0x7f800000, v6
	v_cmp_ne_u32_e32 vcc, s6, v7
	s_and_saveexec_b64 s[6:7], vcc
	s_xor_b64 s[6:7], exec, s[6:7]
; %bb.21:
	v_bfe_u32 v7, v6, 16, 1
	s_movk_i32 s13, 0x7fff
	v_add3_u32 v8, v6, v7, s13
                                        ; implicit-def: $vgpr6
; %bb.22:
	s_andn2_saveexec_b64 s[6:7], s[6:7]
; %bb.23:
	v_mov_b32_e32 v7, 0
	v_or_b32_e32 v8, 0x10000, v6
	v_cmp_eq_u32_sdwa vcc, v6, v7 src0_sel:WORD_0 src1_sel:DWORD
	v_cndmask_b32_e32 v8, v8, v6, vcc
; %bb.24:
	s_or_b64 exec, exec, s[6:7]
	v_mov_b32_e32 v7, s12
	v_add_co_u32_e32 v6, vcc, s11, v2
	v_addc_co_u32_e32 v7, vcc, v7, v3, vcc
	global_load_dword v9, v[6:7], off offset:4
	v_lshlrev_b64 v[6:7], 1, v[0:1]
	v_mov_b32_e32 v11, s9
	v_add_co_u32_e32 v10, vcc, s8, v6
	v_addc_co_u32_e32 v11, vcc, v11, v7, vcc
	global_store_short_d16_hi v[10:11], v8, off offset:2
	s_mov_b32 s6, 0x7f800000
	s_waitcnt vmcnt(1)
	v_and_b32_e32 v8, 0x7f800000, v9
	v_cmp_ne_u32_e32 vcc, s6, v8
                                        ; implicit-def: $vgpr8
	s_and_saveexec_b64 s[6:7], vcc
	s_xor_b64 s[6:7], exec, s[6:7]
; %bb.25:
	v_bfe_u32 v8, v9, 16, 1
	s_movk_i32 s13, 0x7fff
	v_add3_u32 v8, v9, v8, s13
                                        ; implicit-def: $vgpr9
; %bb.26:
	s_andn2_saveexec_b64 s[6:7], s[6:7]
; %bb.27:
	v_mov_b32_e32 v8, 0
	v_or_b32_e32 v10, 0x10000, v9
	v_cmp_eq_u32_sdwa vcc, v9, v8 src0_sel:WORD_0 src1_sel:DWORD
	v_cndmask_b32_e32 v8, v10, v9, vcc
; %bb.28:
	s_or_b64 exec, exec, s[6:7]
	v_mov_b32_e32 v9, s10
	v_add_co_u32_e32 v6, vcc, s3, v6
	v_addc_co_u32_e32 v7, vcc, v9, v7, vcc
	s_mov_b64 s[6:7], 0
	global_store_short_d16_hi v[6:7], v8, off offset:2
.LBB28_29:
	s_and_b64 vcc, exec, s[6:7]
	s_cbranch_vccz .LBB28_31
; %bb.30:
	global_load_dword v8, v[4:5], off offset:4
	v_mov_b32_e32 v7, s12
	v_add_co_u32_e32 v6, vcc, s11, v2
	v_addc_co_u32_e32 v7, vcc, v7, v3, vcc
	global_load_dword v9, v[6:7], off offset:4
	v_mov_b32_e32 v7, s9
	v_add_co_u32_e32 v6, vcc, s8, v2
	v_addc_co_u32_e32 v7, vcc, v7, v3, vcc
	v_mov_b32_e32 v10, s10
	s_waitcnt vmcnt(1)
	global_store_dword v[6:7], v8, off offset:4
	v_add_co_u32_e32 v6, vcc, s3, v2
	v_addc_co_u32_e32 v7, vcc, v10, v3, vcc
	s_waitcnt vmcnt(1)
	global_store_dword v[6:7], v9, off offset:4
.LBB28_31:
	s_or_b64 exec, exec, s[4:5]
	v_or_b32_e32 v6, 2, v0
	v_cmp_gt_i32_e32 vcc, s2, v6
	s_and_saveexec_b64 s[4:5], vcc
	s_cbranch_execz .LBB28_44
; %bb.32:
	s_and_b64 vcc, exec, s[0:1]
	s_mov_b64 s[6:7], -1
	s_cbranch_vccnz .LBB28_42
; %bb.33:
	global_load_dword v6, v[4:5], off offset:8
	s_mov_b32 s6, 0x7f800000
                                        ; implicit-def: $vgpr8
	s_waitcnt vmcnt(0)
	v_and_b32_e32 v7, 0x7f800000, v6
	v_cmp_ne_u32_e32 vcc, s6, v7
	s_and_saveexec_b64 s[6:7], vcc
	s_xor_b64 s[6:7], exec, s[6:7]
; %bb.34:
	v_bfe_u32 v7, v6, 16, 1
	s_movk_i32 s13, 0x7fff
	v_add3_u32 v8, v6, v7, s13
                                        ; implicit-def: $vgpr6
; %bb.35:
	s_andn2_saveexec_b64 s[6:7], s[6:7]
; %bb.36:
	v_mov_b32_e32 v7, 0
	v_or_b32_e32 v8, 0x10000, v6
	v_cmp_eq_u32_sdwa vcc, v6, v7 src0_sel:WORD_0 src1_sel:DWORD
	v_cndmask_b32_e32 v8, v8, v6, vcc
; %bb.37:
	s_or_b64 exec, exec, s[6:7]
	v_mov_b32_e32 v7, s12
	v_add_co_u32_e32 v6, vcc, s11, v2
	v_addc_co_u32_e32 v7, vcc, v7, v3, vcc
	global_load_dword v9, v[6:7], off offset:8
	v_lshlrev_b64 v[6:7], 1, v[0:1]
	v_mov_b32_e32 v11, s9
	v_add_co_u32_e32 v10, vcc, s8, v6
	v_addc_co_u32_e32 v11, vcc, v11, v7, vcc
	global_store_short_d16_hi v[10:11], v8, off offset:4
	s_mov_b32 s6, 0x7f800000
	s_waitcnt vmcnt(1)
	v_and_b32_e32 v8, 0x7f800000, v9
	v_cmp_ne_u32_e32 vcc, s6, v8
                                        ; implicit-def: $vgpr8
	s_and_saveexec_b64 s[6:7], vcc
	s_xor_b64 s[6:7], exec, s[6:7]
; %bb.38:
	v_bfe_u32 v8, v9, 16, 1
	s_movk_i32 s13, 0x7fff
	v_add3_u32 v8, v9, v8, s13
                                        ; implicit-def: $vgpr9
; %bb.39:
	s_andn2_saveexec_b64 s[6:7], s[6:7]
; %bb.40:
	v_mov_b32_e32 v8, 0
	v_or_b32_e32 v10, 0x10000, v9
	v_cmp_eq_u32_sdwa vcc, v9, v8 src0_sel:WORD_0 src1_sel:DWORD
	v_cndmask_b32_e32 v8, v10, v9, vcc
; %bb.41:
	s_or_b64 exec, exec, s[6:7]
	v_mov_b32_e32 v9, s10
	v_add_co_u32_e32 v6, vcc, s3, v6
	v_addc_co_u32_e32 v7, vcc, v9, v7, vcc
	s_mov_b64 s[6:7], 0
	global_store_short_d16_hi v[6:7], v8, off offset:4
.LBB28_42:
	s_and_b64 vcc, exec, s[6:7]
	s_cbranch_vccz .LBB28_44
; %bb.43:
	global_load_dword v8, v[4:5], off offset:8
	v_mov_b32_e32 v7, s12
	v_add_co_u32_e32 v6, vcc, s11, v2
	v_addc_co_u32_e32 v7, vcc, v7, v3, vcc
	global_load_dword v9, v[6:7], off offset:8
	v_mov_b32_e32 v7, s9
	v_add_co_u32_e32 v6, vcc, s8, v2
	v_addc_co_u32_e32 v7, vcc, v7, v3, vcc
	v_mov_b32_e32 v10, s10
	s_waitcnt vmcnt(1)
	global_store_dword v[6:7], v8, off offset:8
	v_add_co_u32_e32 v6, vcc, s3, v2
	v_addc_co_u32_e32 v7, vcc, v10, v3, vcc
	s_waitcnt vmcnt(1)
	global_store_dword v[6:7], v9, off offset:8
.LBB28_44:
	s_or_b64 exec, exec, s[4:5]
	v_or_b32_e32 v6, 3, v0
	v_cmp_gt_i32_e32 vcc, s2, v6
	s_and_b64 exec, exec, vcc
	s_cbranch_execz .LBB28_57
; %bb.45:
	s_and_b64 vcc, exec, s[0:1]
	s_mov_b64 s[0:1], -1
	s_cbranch_vccnz .LBB28_55
; %bb.46:
	global_load_dword v7, v[4:5], off offset:12
	s_mov_b32 s0, 0x7f800000
	s_waitcnt vmcnt(0)
	v_and_b32_e32 v6, 0x7f800000, v7
	v_cmp_ne_u32_e32 vcc, s0, v6
                                        ; implicit-def: $vgpr6
	s_and_saveexec_b64 s[0:1], vcc
	s_xor_b64 s[0:1], exec, s[0:1]
; %bb.47:
	v_bfe_u32 v6, v7, 16, 1
	s_movk_i32 s2, 0x7fff
	v_add3_u32 v6, v7, v6, s2
                                        ; implicit-def: $vgpr7
; %bb.48:
	s_andn2_saveexec_b64 s[0:1], s[0:1]
; %bb.49:
	v_mov_b32_e32 v6, 0
	v_or_b32_e32 v8, 0x10000, v7
	v_cmp_eq_u32_sdwa vcc, v7, v6 src0_sel:WORD_0 src1_sel:DWORD
	v_cndmask_b32_e32 v6, v8, v7, vcc
; %bb.50:
	s_or_b64 exec, exec, s[0:1]
	v_mov_b32_e32 v7, s12
	v_add_co_u32_e32 v8, vcc, s11, v2
	v_addc_co_u32_e32 v9, vcc, v7, v3, vcc
	global_load_dword v7, v[8:9], off offset:12
	v_lshlrev_b64 v[0:1], 1, v[0:1]
	v_mov_b32_e32 v9, s9
	v_add_co_u32_e32 v8, vcc, s8, v0
	v_addc_co_u32_e32 v9, vcc, v9, v1, vcc
	global_store_short_d16_hi v[8:9], v6, off offset:6
	s_mov_b32 s0, 0x7f800000
	s_waitcnt vmcnt(1)
	v_and_b32_e32 v6, 0x7f800000, v7
	v_cmp_ne_u32_e32 vcc, s0, v6
                                        ; implicit-def: $vgpr6
	s_and_saveexec_b64 s[0:1], vcc
	s_xor_b64 s[0:1], exec, s[0:1]
; %bb.51:
	v_bfe_u32 v6, v7, 16, 1
	s_movk_i32 s2, 0x7fff
	v_add3_u32 v6, v7, v6, s2
                                        ; implicit-def: $vgpr7
; %bb.52:
	s_andn2_saveexec_b64 s[0:1], s[0:1]
; %bb.53:
	v_mov_b32_e32 v6, 0
	v_or_b32_e32 v8, 0x10000, v7
	v_cmp_eq_u32_sdwa vcc, v7, v6 src0_sel:WORD_0 src1_sel:DWORD
	v_cndmask_b32_e32 v6, v8, v7, vcc
; %bb.54:
	s_or_b64 exec, exec, s[0:1]
	v_mov_b32_e32 v7, s10
	v_add_co_u32_e32 v0, vcc, s3, v0
	v_addc_co_u32_e32 v1, vcc, v7, v1, vcc
	s_mov_b64 s[0:1], 0
	global_store_short_d16_hi v[0:1], v6, off offset:6
.LBB28_55:
	s_and_b64 vcc, exec, s[0:1]
	s_cbranch_vccz .LBB28_57
; %bb.56:
	global_load_dword v4, v[4:5], off offset:12
	v_mov_b32_e32 v1, s12
	v_add_co_u32_e32 v0, vcc, s11, v2
	v_addc_co_u32_e32 v1, vcc, v1, v3, vcc
	global_load_dword v5, v[0:1], off offset:12
	v_mov_b32_e32 v1, s9
	v_add_co_u32_e32 v0, vcc, s8, v2
	v_addc_co_u32_e32 v1, vcc, v1, v3, vcc
	v_mov_b32_e32 v6, s10
	s_waitcnt vmcnt(1)
	global_store_dword v[0:1], v4, off offset:12
	v_add_co_u32_e32 v0, vcc, s3, v2
	v_addc_co_u32_e32 v1, vcc, v6, v3, vcc
	s_waitcnt vmcnt(1)
	global_store_dword v[0:1], v5, off offset:12
.LBB28_57:
	s_endpgm
	.section	.rodata,"a",@progbits
	.p2align	6, 0x0
	.amdhsa_kernel _Z16split_qkv_kernelILi4EEvPKfPfPvS3_iiiiiPKiiS5_xiiPKxS5_S5_
		.amdhsa_group_segment_fixed_size 0
		.amdhsa_private_segment_fixed_size 0
		.amdhsa_kernarg_size 376
		.amdhsa_user_sgpr_count 6
		.amdhsa_user_sgpr_private_segment_buffer 1
		.amdhsa_user_sgpr_dispatch_ptr 0
		.amdhsa_user_sgpr_queue_ptr 0
		.amdhsa_user_sgpr_kernarg_segment_ptr 1
		.amdhsa_user_sgpr_dispatch_id 0
		.amdhsa_user_sgpr_flat_scratch_init 0
		.amdhsa_user_sgpr_kernarg_preload_length 0
		.amdhsa_user_sgpr_kernarg_preload_offset 0
		.amdhsa_user_sgpr_private_segment_size 0
		.amdhsa_uses_dynamic_stack 0
		.amdhsa_system_sgpr_private_segment_wavefront_offset 0
		.amdhsa_system_sgpr_workgroup_id_x 1
		.amdhsa_system_sgpr_workgroup_id_y 1
		.amdhsa_system_sgpr_workgroup_id_z 0
		.amdhsa_system_sgpr_workgroup_info 0
		.amdhsa_system_vgpr_workitem_id 0
		.amdhsa_next_free_vgpr 12
		.amdhsa_next_free_sgpr 28
		.amdhsa_accum_offset 12
		.amdhsa_reserve_vcc 1
		.amdhsa_reserve_flat_scratch 0
		.amdhsa_float_round_mode_32 0
		.amdhsa_float_round_mode_16_64 0
		.amdhsa_float_denorm_mode_32 3
		.amdhsa_float_denorm_mode_16_64 3
		.amdhsa_dx10_clamp 1
		.amdhsa_ieee_mode 1
		.amdhsa_fp16_overflow 0
		.amdhsa_tg_split 0
		.amdhsa_exception_fp_ieee_invalid_op 0
		.amdhsa_exception_fp_denorm_src 0
		.amdhsa_exception_fp_ieee_div_zero 0
		.amdhsa_exception_fp_ieee_overflow 0
		.amdhsa_exception_fp_ieee_underflow 0
		.amdhsa_exception_fp_ieee_inexact 0
		.amdhsa_exception_int_div_zero 0
	.end_amdhsa_kernel
	.section	.text._Z16split_qkv_kernelILi4EEvPKfPfPvS3_iiiiiPKiiS5_xiiPKxS5_S5_,"axG",@progbits,_Z16split_qkv_kernelILi4EEvPKfPfPvS3_iiiiiPKiiS5_xiiPKxS5_S5_,comdat
.Lfunc_end28:
	.size	_Z16split_qkv_kernelILi4EEvPKfPfPvS3_iiiiiPKiiS5_xiiPKxS5_S5_, .Lfunc_end28-_Z16split_qkv_kernelILi4EEvPKfPfPvS3_iiiiiPKiiS5_xiiPKxS5_S5_
                                        ; -- End function
	.section	.AMDGPU.csdata,"",@progbits
; Kernel info:
; codeLenInByte = 2100
; NumSgprs: 32
; NumVgprs: 12
; NumAgprs: 0
; TotalNumVgprs: 12
; ScratchSize: 0
; MemoryBound: 0
; FloatMode: 240
; IeeeMode: 1
; LDSByteSize: 0 bytes/workgroup (compile time only)
; SGPRBlocks: 3
; VGPRBlocks: 1
; NumSGPRsForWavesPerEU: 32
; NumVGPRsForWavesPerEU: 12
; AccumOffset: 12
; Occupancy: 8
; WaveLimiterHint : 1
; COMPUTE_PGM_RSRC2:SCRATCH_EN: 0
; COMPUTE_PGM_RSRC2:USER_SGPR: 6
; COMPUTE_PGM_RSRC2:TRAP_HANDLER: 0
; COMPUTE_PGM_RSRC2:TGID_X_EN: 1
; COMPUTE_PGM_RSRC2:TGID_Y_EN: 1
; COMPUTE_PGM_RSRC2:TGID_Z_EN: 0
; COMPUTE_PGM_RSRC2:TIDIG_COMP_CNT: 0
; COMPUTE_PGM_RSRC3_GFX90A:ACCUM_OFFSET: 2
; COMPUTE_PGM_RSRC3_GFX90A:TG_SPLIT: 0
	.section	.text._Z16split_qkv_kernelILi1EEvPKfPfPvS3_iiiiiPKiiS5_xiiPKxS5_S5_,"axG",@progbits,_Z16split_qkv_kernelILi1EEvPKfPfPvS3_iiiiiPKiiS5_xiiPKxS5_S5_,comdat
	.protected	_Z16split_qkv_kernelILi1EEvPKfPfPvS3_iiiiiPKiiS5_xiiPKxS5_S5_ ; -- Begin function _Z16split_qkv_kernelILi1EEvPKfPfPvS3_iiiiiPKiiS5_xiiPKxS5_S5_
	.globl	_Z16split_qkv_kernelILi1EEvPKfPfPvS3_iiiiiPKiiS5_xiiPKxS5_S5_
	.p2align	8
	.type	_Z16split_qkv_kernelILi1EEvPKfPfPvS3_iiiiiPKiiS5_xiiPKxS5_S5_,@function
_Z16split_qkv_kernelILi1EEvPKfPfPvS3_iiiiiPKiiS5_xiiPKxS5_S5_: ; @_Z16split_qkv_kernelILi1EEvPKfPfPvS3_iiiiiPKiiS5_xiiPKxS5_S5_
; %bb.0:
	s_load_dwordx4 s[0:3], s[4:5], 0x20
	s_waitcnt lgkmcnt(0)
	s_cmp_ge_i32 s7, s0
	s_cbranch_scc1 .LBB29_18
; %bb.1:
	s_load_dwordx2 s[14:15], s[4:5], 0x0
	s_load_dword s12, s[4:5], 0x30
	s_load_dwordx2 s[18:19], s[4:5], 0x70
	s_load_dwordx4 s[20:23], s[4:5], 0x60
	s_load_dwordx2 s[24:25], s[4:5], 0x48
	s_load_dwordx2 s[26:27], s[4:5], 0x38
	s_load_dword s16, s[4:5], 0x84
	s_waitcnt lgkmcnt(0)
	s_ashr_i32 s13, s12, 31
	s_lshl_b64 s[8:9], s[12:13], 3
	s_add_u32 s8, s20, s8
	s_addc_u32 s9, s21, s9
	s_lshl_b64 s[12:13], s[12:13], 2
	s_add_u32 s20, s22, s12
	s_addc_u32 s21, s23, s13
	s_mov_b32 s10, s7
	s_add_u32 s12, s18, s12
	s_addc_u32 s13, s19, s13
	s_ashr_i32 s11, s10, 31
	s_load_dword s0, s[12:13], 0x0
	s_lshl_b64 s[12:13], s[10:11], 2
	s_add_u32 s18, s26, s12
	s_addc_u32 s19, s27, s13
	s_load_dword s7, s[20:21], 0x0
	s_load_dword s11, s[18:19], 0x0
	s_add_u32 s12, s24, s12
	s_addc_u32 s13, s25, s13
	s_waitcnt lgkmcnt(0)
	s_cmp_eq_u32 s0, 0
	s_cbranch_scc1 .LBB29_3
; %bb.2:
	s_abs_i32 s0, s7
	v_cvt_f32_u32_e32 v1, s0
	s_sub_i32 s18, 0, s0
	s_ashr_i32 s17, s11, 31
	s_abs_i32 s11, s11
	v_rcp_iflag_f32_e32 v1, v1
	v_mul_f32_e32 v1, 0x4f7ffffe, v1
	v_cvt_u32_f32_e32 v1, v1
	v_readfirstlane_b32 s19, v1
	s_mul_i32 s18, s18, s19
	s_mul_hi_u32 s18, s19, s18
	s_add_i32 s19, s19, s18
	s_mul_hi_u32 s18, s11, s19
	s_mul_i32 s18, s18, s0
	s_sub_i32 s11, s11, s18
	s_sub_i32 s18, s11, s0
	s_cmp_ge_u32 s11, s0
	s_cselect_b32 s11, s18, s11
	s_sub_i32 s18, s11, s0
	s_cmp_ge_u32 s11, s0
	s_cselect_b32 s0, s18, s11
	s_xor_b32 s0, s0, s17
	s_sub_i32 s11, s0, s17
.LBB29_3:
	s_lshl_b32 s3, s3, 1
	s_mul_i32 s0, s2, s1
	s_add_i32 s2, s3, s2
	s_mul_i32 s1, s2, s1
	s_and_b32 s2, 0xffff, s16
	s_mul_i32 s6, s6, s2
	s_mul_hi_i32 s3, s1, s10
	s_mul_i32 s2, s1, s10
	s_lshl_b64 s[2:3], s[2:3], 2
	v_add_u32_e32 v0, s6, v0
	s_add_u32 s6, s14, s2
	s_addc_u32 s14, s15, s3
	s_ashr_i32 s1, s0, 31
	v_cmp_gt_i32_e32 vcc, s0, v0
	v_ashrrev_i32_e32 v1, 31, v0
	s_and_saveexec_b64 s[2:3], vcc
	s_cbranch_execz .LBB29_5
; %bb.4:
	v_lshlrev_b64 v[2:3], 2, v[0:1]
	v_mov_b32_e32 v5, s14
	v_add_co_u32_e32 v4, vcc, s6, v2
	v_addc_co_u32_e32 v5, vcc, v5, v3, vcc
	global_load_dword v4, v[4:5], off
	s_load_dwordx2 s[16:17], s[4:5], 0x8
	s_mul_hi_i32 s19, s0, s10
	s_mul_i32 s18, s0, s10
	s_lshl_b64 s[18:19], s[18:19], 2
	s_waitcnt lgkmcnt(0)
	s_add_u32 s10, s16, s18
	s_addc_u32 s15, s17, s19
	v_mov_b32_e32 v5, s15
	v_add_co_u32_e32 v2, vcc, s10, v2
	v_addc_co_u32_e32 v3, vcc, v5, v3, vcc
	s_waitcnt vmcnt(0)
	global_store_dword v[2:3], v4, off
.LBB29_5:
	s_or_b64 exec, exec, s[2:3]
	s_load_dwordx2 s[2:3], s[4:5], 0x58
	s_waitcnt lgkmcnt(0)
	v_cmp_gt_i32_e32 vcc, s2, v0
	s_and_saveexec_b64 s[16:17], vcc
	s_cbranch_execz .LBB29_18
; %bb.6:
	s_load_dword s10, s[12:13], 0x0
	s_load_dwordx4 s[16:19], s[4:5], 0x10
	s_load_dwordx2 s[20:21], s[8:9], 0x0
	s_ashr_i32 s9, s2, 31
	s_ashr_i32 s5, s11, 31
	s_waitcnt lgkmcnt(0)
	s_mul_hi_i32 s4, s10, s7
	s_mul_i32 s10, s10, s7
	s_add_u32 s7, s10, s11
	s_addc_u32 s4, s4, s5
	s_mul_i32 s5, s7, s9
	s_mul_hi_u32 s10, s7, s2
	s_add_i32 s5, s10, s5
	s_mul_i32 s4, s4, s2
	s_add_i32 s5, s5, s4
	s_mul_i32 s7, s7, s2
	s_add_u32 s4, s7, s20
	s_addc_u32 s5, s5, s21
	s_cmp_eq_u32 s3, 0
	s_mov_b32 s8, s2
	s_cselect_b64 s[2:3], -1, 0
	s_and_b64 vcc, s[2:3], exec
	s_cselect_b32 s2, 2, 1
	s_lshl_b64 s[10:11], s[4:5], s2
	s_add_u32 s3, s16, s10
	s_addc_u32 s4, s17, s11
	s_add_u32 s2, s18, s10
	s_addc_u32 s5, s19, s11
	s_lshl_b64 s[0:1], s[0:1], 2
	s_add_u32 s10, s6, s0
	s_addc_u32 s11, s14, s1
	s_lshl_b64 s[0:1], s[8:9], 2
	s_add_u32 s6, s10, s0
	v_lshlrev_b64 v[2:3], 2, v[0:1]
	s_addc_u32 s7, s11, s1
	v_mov_b32_e32 v5, s11
	v_add_co_u32_e64 v4, s[0:1], s10, v2
	v_addc_co_u32_e64 v5, s[0:1], v5, v3, s[0:1]
	s_mov_b64 s[0:1], -1
	s_cbranch_vccnz .LBB29_16
; %bb.7:
	global_load_dword v7, v[4:5], off
	s_mov_b32 s0, 0x7f800000
	s_waitcnt vmcnt(0)
	v_and_b32_e32 v6, 0x7f800000, v7
	v_cmp_ne_u32_e32 vcc, s0, v6
                                        ; implicit-def: $vgpr6
	s_and_saveexec_b64 s[0:1], vcc
	s_xor_b64 s[0:1], exec, s[0:1]
; %bb.8:
	v_bfe_u32 v6, v7, 16, 1
	s_movk_i32 s8, 0x7fff
	v_add3_u32 v6, v7, v6, s8
                                        ; implicit-def: $vgpr7
; %bb.9:
	s_andn2_saveexec_b64 s[0:1], s[0:1]
; %bb.10:
	v_mov_b32_e32 v6, 0
	v_or_b32_e32 v8, 0x10000, v7
	v_cmp_eq_u32_sdwa vcc, v7, v6 src0_sel:WORD_0 src1_sel:DWORD
	v_cndmask_b32_e32 v6, v8, v7, vcc
; %bb.11:
	s_or_b64 exec, exec, s[0:1]
	v_mov_b32_e32 v7, s7
	v_add_co_u32_e32 v8, vcc, s6, v2
	v_addc_co_u32_e32 v9, vcc, v7, v3, vcc
	global_load_dword v7, v[8:9], off
	v_lshlrev_b64 v[0:1], 1, v[0:1]
	v_mov_b32_e32 v9, s4
	v_add_co_u32_e32 v8, vcc, s3, v0
	v_addc_co_u32_e32 v9, vcc, v9, v1, vcc
	global_store_short_d16_hi v[8:9], v6, off
	s_mov_b32 s0, 0x7f800000
	s_waitcnt vmcnt(1)
	v_and_b32_e32 v6, 0x7f800000, v7
	v_cmp_ne_u32_e32 vcc, s0, v6
                                        ; implicit-def: $vgpr6
	s_and_saveexec_b64 s[0:1], vcc
	s_xor_b64 s[0:1], exec, s[0:1]
; %bb.12:
	v_bfe_u32 v6, v7, 16, 1
	s_movk_i32 s8, 0x7fff
	v_add3_u32 v6, v7, v6, s8
                                        ; implicit-def: $vgpr7
; %bb.13:
	s_andn2_saveexec_b64 s[0:1], s[0:1]
; %bb.14:
	v_mov_b32_e32 v6, 0
	v_or_b32_e32 v8, 0x10000, v7
	v_cmp_eq_u32_sdwa vcc, v7, v6 src0_sel:WORD_0 src1_sel:DWORD
	v_cndmask_b32_e32 v6, v8, v7, vcc
; %bb.15:
	s_or_b64 exec, exec, s[0:1]
	v_mov_b32_e32 v7, s5
	v_add_co_u32_e32 v0, vcc, s2, v0
	v_addc_co_u32_e32 v1, vcc, v7, v1, vcc
	s_mov_b64 s[0:1], 0
	global_store_short_d16_hi v[0:1], v6, off
.LBB29_16:
	s_and_b64 vcc, exec, s[0:1]
	s_cbranch_vccz .LBB29_18
; %bb.17:
	global_load_dword v4, v[4:5], off
	v_mov_b32_e32 v1, s7
	v_add_co_u32_e32 v0, vcc, s6, v2
	v_addc_co_u32_e32 v1, vcc, v1, v3, vcc
	global_load_dword v5, v[0:1], off
	v_mov_b32_e32 v1, s4
	v_add_co_u32_e32 v0, vcc, s3, v2
	v_addc_co_u32_e32 v1, vcc, v1, v3, vcc
	v_mov_b32_e32 v6, s5
	s_waitcnt vmcnt(1)
	global_store_dword v[0:1], v4, off
	v_add_co_u32_e32 v0, vcc, s2, v2
	v_addc_co_u32_e32 v1, vcc, v6, v3, vcc
	s_waitcnt vmcnt(1)
	global_store_dword v[0:1], v5, off
.LBB29_18:
	s_endpgm
	.section	.rodata,"a",@progbits
	.p2align	6, 0x0
	.amdhsa_kernel _Z16split_qkv_kernelILi1EEvPKfPfPvS3_iiiiiPKiiS5_xiiPKxS5_S5_
		.amdhsa_group_segment_fixed_size 0
		.amdhsa_private_segment_fixed_size 0
		.amdhsa_kernarg_size 376
		.amdhsa_user_sgpr_count 6
		.amdhsa_user_sgpr_private_segment_buffer 1
		.amdhsa_user_sgpr_dispatch_ptr 0
		.amdhsa_user_sgpr_queue_ptr 0
		.amdhsa_user_sgpr_kernarg_segment_ptr 1
		.amdhsa_user_sgpr_dispatch_id 0
		.amdhsa_user_sgpr_flat_scratch_init 0
		.amdhsa_user_sgpr_kernarg_preload_length 0
		.amdhsa_user_sgpr_kernarg_preload_offset 0
		.amdhsa_user_sgpr_private_segment_size 0
		.amdhsa_uses_dynamic_stack 0
		.amdhsa_system_sgpr_private_segment_wavefront_offset 0
		.amdhsa_system_sgpr_workgroup_id_x 1
		.amdhsa_system_sgpr_workgroup_id_y 1
		.amdhsa_system_sgpr_workgroup_id_z 0
		.amdhsa_system_sgpr_workgroup_info 0
		.amdhsa_system_vgpr_workitem_id 0
		.amdhsa_next_free_vgpr 10
		.amdhsa_next_free_sgpr 28
		.amdhsa_accum_offset 12
		.amdhsa_reserve_vcc 1
		.amdhsa_reserve_flat_scratch 0
		.amdhsa_float_round_mode_32 0
		.amdhsa_float_round_mode_16_64 0
		.amdhsa_float_denorm_mode_32 3
		.amdhsa_float_denorm_mode_16_64 3
		.amdhsa_dx10_clamp 1
		.amdhsa_ieee_mode 1
		.amdhsa_fp16_overflow 0
		.amdhsa_tg_split 0
		.amdhsa_exception_fp_ieee_invalid_op 0
		.amdhsa_exception_fp_denorm_src 0
		.amdhsa_exception_fp_ieee_div_zero 0
		.amdhsa_exception_fp_ieee_overflow 0
		.amdhsa_exception_fp_ieee_underflow 0
		.amdhsa_exception_fp_ieee_inexact 0
		.amdhsa_exception_int_div_zero 0
	.end_amdhsa_kernel
	.section	.text._Z16split_qkv_kernelILi1EEvPKfPfPvS3_iiiiiPKiiS5_xiiPKxS5_S5_,"axG",@progbits,_Z16split_qkv_kernelILi1EEvPKfPfPvS3_iiiiiPKiiS5_xiiPKxS5_S5_,comdat
.Lfunc_end29:
	.size	_Z16split_qkv_kernelILi1EEvPKfPfPvS3_iiiiiPKiiS5_xiiPKxS5_S5_, .Lfunc_end29-_Z16split_qkv_kernelILi1EEvPKfPfPvS3_iiiiiPKiiS5_xiiPKxS5_S5_
                                        ; -- End function
	.section	.AMDGPU.csdata,"",@progbits
; Kernel info:
; codeLenInByte = 980
; NumSgprs: 32
; NumVgprs: 10
; NumAgprs: 0
; TotalNumVgprs: 10
; ScratchSize: 0
; MemoryBound: 0
; FloatMode: 240
; IeeeMode: 1
; LDSByteSize: 0 bytes/workgroup (compile time only)
; SGPRBlocks: 3
; VGPRBlocks: 1
; NumSGPRsForWavesPerEU: 32
; NumVGPRsForWavesPerEU: 10
; AccumOffset: 12
; Occupancy: 8
; WaveLimiterHint : 1
; COMPUTE_PGM_RSRC2:SCRATCH_EN: 0
; COMPUTE_PGM_RSRC2:USER_SGPR: 6
; COMPUTE_PGM_RSRC2:TRAP_HANDLER: 0
; COMPUTE_PGM_RSRC2:TGID_X_EN: 1
; COMPUTE_PGM_RSRC2:TGID_Y_EN: 1
; COMPUTE_PGM_RSRC2:TGID_Z_EN: 0
; COMPUTE_PGM_RSRC2:TIDIG_COMP_CNT: 0
; COMPUTE_PGM_RSRC3_GFX90A:ACCUM_OFFSET: 2
; COMPUTE_PGM_RSRC3_GFX90A:TG_SPLIT: 0
	.text
	.p2alignl 6, 3212836864
	.fill 256, 4, 3212836864
	.type	__hip_cuid_3a79350689c52fc9,@object ; @__hip_cuid_3a79350689c52fc9
	.section	.bss,"aw",@nobits
	.globl	__hip_cuid_3a79350689c52fc9
__hip_cuid_3a79350689c52fc9:
	.byte	0                               ; 0x0
	.size	__hip_cuid_3a79350689c52fc9, 1

	.ident	"AMD clang version 19.0.0git (https://github.com/RadeonOpenCompute/llvm-project roc-6.4.0 25133 c7fe45cf4b819c5991fe208aaa96edf142730f1d)"
	.section	".note.GNU-stack","",@progbits
	.addrsig
	.addrsig_sym __hip_cuid_3a79350689c52fc9
	.amdgpu_metadata
---
amdhsa.kernels:
  - .agpr_count:     0
    .args:
      - .actual_access:  read_only
        .address_space:  global
        .offset:         0
        .size:           8
        .value_kind:     global_buffer
      - .actual_access:  read_only
        .address_space:  global
        .offset:         8
        .size:           8
        .value_kind:     global_buffer
      - .actual_access:  write_only
        .address_space:  global
        .offset:         16
        .size:           8
        .value_kind:     global_buffer
      - .offset:         24
        .size:           4
        .value_kind:     by_value
      - .offset:         28
        .size:           4
        .value_kind:     by_value
      - .offset:         32
        .size:           4
        .value_kind:     hidden_block_count_x
      - .offset:         36
        .size:           4
        .value_kind:     hidden_block_count_y
      - .offset:         40
        .size:           4
        .value_kind:     hidden_block_count_z
      - .offset:         44
        .size:           2
        .value_kind:     hidden_group_size_x
      - .offset:         46
        .size:           2
        .value_kind:     hidden_group_size_y
      - .offset:         48
        .size:           2
        .value_kind:     hidden_group_size_z
      - .offset:         50
        .size:           2
        .value_kind:     hidden_remainder_x
      - .offset:         52
        .size:           2
        .value_kind:     hidden_remainder_y
      - .offset:         54
        .size:           2
        .value_kind:     hidden_remainder_z
      - .offset:         72
        .size:           8
        .value_kind:     hidden_global_offset_x
      - .offset:         80
        .size:           8
        .value_kind:     hidden_global_offset_y
      - .offset:         88
        .size:           8
        .value_kind:     hidden_global_offset_z
      - .offset:         96
        .size:           2
        .value_kind:     hidden_grid_dims
    .group_segment_fixed_size: 4
    .kernarg_segment_align: 8
    .kernarg_segment_size: 288
    .language:       OpenCL C
    .language_version:
      - 2
      - 0
    .max_flat_workgroup_size: 256
    .name:           _Z19embed_kernel_scalarPK14__hip_bfloat16PKiPfii
    .private_segment_fixed_size: 0
    .sgpr_count:     18
    .sgpr_spill_count: 0
    .symbol:         _Z19embed_kernel_scalarPK14__hip_bfloat16PKiPfii.kd
    .uniform_work_group_size: 1
    .uses_dynamic_stack: false
    .vgpr_count:     5
    .vgpr_spill_count: 0
    .wavefront_size: 64
  - .agpr_count:     0
    .args:
      - .actual_access:  read_only
        .address_space:  global
        .offset:         0
        .size:           8
        .value_kind:     global_buffer
      - .actual_access:  read_only
        .address_space:  global
        .offset:         8
        .size:           8
        .value_kind:     global_buffer
      - .actual_access:  write_only
        .address_space:  global
        .offset:         16
        .size:           8
        .value_kind:     global_buffer
      - .offset:         24
        .size:           4
        .value_kind:     by_value
      - .offset:         28
        .size:           4
        .value_kind:     by_value
      - .offset:         32
        .size:           4
        .value_kind:     by_value
    .group_segment_fixed_size: 17408
    .kernarg_segment_align: 8
    .kernarg_segment_size: 36
    .language:       OpenCL C
    .language_version:
      - 2
      - 0
    .max_flat_workgroup_size: 1024
    .name:           _Z25gemm_bf16_f32_mfma_logitsPK14__hip_bfloat16PKfPfiii
    .private_segment_fixed_size: 0
    .sgpr_count:     31
    .sgpr_spill_count: 0
    .symbol:         _Z25gemm_bf16_f32_mfma_logitsPK14__hip_bfloat16PKfPfiii.kd
    .uniform_work_group_size: 1
    .uses_dynamic_stack: false
    .vgpr_count:     54
    .vgpr_spill_count: 0
    .wavefront_size: 64
  - .agpr_count:     0
    .args:
      - .actual_access:  read_only
        .address_space:  global
        .offset:         0
        .size:           8
        .value_kind:     global_buffer
      - .actual_access:  read_only
        .address_space:  global
        .offset:         8
        .size:           8
        .value_kind:     global_buffer
      - .actual_access:  write_only
        .address_space:  global
        .offset:         16
        .size:           8
        .value_kind:     global_buffer
      - .actual_access:  read_only
        .address_space:  global
        .offset:         24
        .size:           8
        .value_kind:     global_buffer
      - .offset:         32
        .size:           4
        .value_kind:     by_value
      - .offset:         36
        .size:           4
        .value_kind:     by_value
      - .offset:         40
        .size:           4
        .value_kind:     by_value
    .group_segment_fixed_size: 17408
    .kernarg_segment_align: 8
    .kernarg_segment_size: 44
    .language:       OpenCL C
    .language_version:
      - 2
      - 0
    .max_flat_workgroup_size: 1024
    .name:           _Z20gemm_bf16_f32_mfma_oPK14__hip_bfloat16PKfPfS1_iii
    .private_segment_fixed_size: 0
    .sgpr_count:     39
    .sgpr_spill_count: 0
    .symbol:         _Z20gemm_bf16_f32_mfma_oPK14__hip_bfloat16PKfPfS1_iii.kd
    .uniform_work_group_size: 1
    .uses_dynamic_stack: false
    .vgpr_count:     56
    .vgpr_spill_count: 0
    .wavefront_size: 64
  - .agpr_count:     0
    .args:
      - .actual_access:  read_only
        .address_space:  global
        .offset:         0
        .size:           8
        .value_kind:     global_buffer
      - .actual_access:  read_only
        .address_space:  global
        .offset:         8
        .size:           8
        .value_kind:     global_buffer
      - .actual_access:  write_only
        .address_space:  global
        .offset:         16
        .size:           8
        .value_kind:     global_buffer
      - .actual_access:  read_only
        .address_space:  global
        .offset:         24
        .size:           8
        .value_kind:     global_buffer
      - .offset:         32
        .size:           4
        .value_kind:     by_value
      - .offset:         36
        .size:           4
        .value_kind:     by_value
      - .offset:         40
        .size:           4
        .value_kind:     by_value
    .group_segment_fixed_size: 17408
    .kernarg_segment_align: 8
    .kernarg_segment_size: 44
    .language:       OpenCL C
    .language_version:
      - 2
      - 0
    .max_flat_workgroup_size: 1024
    .name:           _Z22gemm_bf16_f32_mfma_qkvPK14__hip_bfloat16PKfPfS1_iii
    .private_segment_fixed_size: 0
    .sgpr_count:     39
    .sgpr_spill_count: 0
    .symbol:         _Z22gemm_bf16_f32_mfma_qkvPK14__hip_bfloat16PKfPfS1_iii.kd
    .uniform_work_group_size: 1
    .uses_dynamic_stack: false
    .vgpr_count:     56
    .vgpr_spill_count: 0
    .wavefront_size: 64
  - .agpr_count:     0
    .args:
      - .actual_access:  read_only
        .address_space:  global
        .offset:         0
        .size:           8
        .value_kind:     global_buffer
      - .actual_access:  read_only
        .address_space:  global
        .offset:         8
        .size:           8
        .value_kind:     global_buffer
      - .actual_access:  write_only
        .address_space:  global
        .offset:         16
        .size:           8
        .value_kind:     global_buffer
      - .actual_access:  read_only
        .address_space:  global
        .offset:         24
        .size:           8
        .value_kind:     global_buffer
      - .offset:         32
        .size:           4
        .value_kind:     by_value
      - .offset:         36
        .size:           4
        .value_kind:     by_value
      - .offset:         40
        .size:           4
        .value_kind:     by_value
    .group_segment_fixed_size: 17408
    .kernarg_segment_align: 8
    .kernarg_segment_size: 44
    .language:       OpenCL C
    .language_version:
      - 2
      - 0
    .max_flat_workgroup_size: 1024
    .name:           _Z25gemm_bf16_f32_mfma_routerPK14__hip_bfloat16PKfPfS1_iii
    .private_segment_fixed_size: 0
    .sgpr_count:     39
    .sgpr_spill_count: 0
    .symbol:         _Z25gemm_bf16_f32_mfma_routerPK14__hip_bfloat16PKfPfS1_iii.kd
    .uniform_work_group_size: 1
    .uses_dynamic_stack: false
    .vgpr_count:     56
    .vgpr_spill_count: 0
    .wavefront_size: 64
  - .agpr_count:     0
    .args:
      - .actual_access:  read_only
        .address_space:  global
        .offset:         0
        .size:           8
        .value_kind:     global_buffer
      - .offset:         8
        .size:           4
        .value_kind:     by_value
      - .offset:         12
        .size:           4
        .value_kind:     by_value
      - .actual_access:  read_only
        .address_space:  global
        .offset:         16
        .size:           8
        .value_kind:     global_buffer
      - .actual_access:  write_only
        .address_space:  global
        .offset:         24
        .size:           8
        .value_kind:     global_buffer
      - .actual_access:  read_only
        .address_space:  global
        .offset:         32
        .size:           8
        .value_kind:     global_buffer
      - .actual_access:  read_only
        .address_space:  global
        .offset:         40
        .size:           8
        .value_kind:     global_buffer
      - .offset:         48
        .size:           4
        .value_kind:     by_value
      - .offset:         52
        .size:           4
        .value_kind:     by_value
      - .offset:         56
        .size:           8
        .value_kind:     by_value
      - .offset:         64
        .size:           8
        .value_kind:     by_value
      - .offset:         72
        .size:           4
        .value_kind:     by_value
      - .offset:         76
        .size:           4
        .value_kind:     by_value
      - .offset:         80
        .size:           4
        .value_kind:     hidden_block_count_x
      - .offset:         84
        .size:           4
        .value_kind:     hidden_block_count_y
      - .offset:         88
        .size:           4
        .value_kind:     hidden_block_count_z
      - .offset:         92
        .size:           2
        .value_kind:     hidden_group_size_x
      - .offset:         94
        .size:           2
        .value_kind:     hidden_group_size_y
      - .offset:         96
        .size:           2
        .value_kind:     hidden_group_size_z
      - .offset:         98
        .size:           2
        .value_kind:     hidden_remainder_x
      - .offset:         100
        .size:           2
        .value_kind:     hidden_remainder_y
      - .offset:         102
        .size:           2
        .value_kind:     hidden_remainder_z
      - .offset:         120
        .size:           8
        .value_kind:     hidden_global_offset_x
      - .offset:         128
        .size:           8
        .value_kind:     hidden_global_offset_y
      - .offset:         136
        .size:           8
        .value_kind:     hidden_global_offset_z
      - .offset:         144
        .size:           2
        .value_kind:     hidden_grid_dims
    .group_segment_fixed_size: 17408
    .kernarg_segment_align: 8
    .kernarg_segment_size: 336
    .language:       OpenCL C
    .language_version:
      - 2
      - 0
    .max_flat_workgroup_size: 1024
    .name:           _Z27moe_mlp1_swiglu_mfma_kernelPKiiiPKfPfPK14__hip_bfloat16S6_iixxff
    .private_segment_fixed_size: 0
    .sgpr_count:     60
    .sgpr_spill_count: 0
    .symbol:         _Z27moe_mlp1_swiglu_mfma_kernelPKiiiPKfPfPK14__hip_bfloat16S6_iixxff.kd
    .uniform_work_group_size: 1
    .uses_dynamic_stack: false
    .vgpr_count:     70
    .vgpr_spill_count: 0
    .wavefront_size: 64
  - .agpr_count:     0
    .args:
      - .actual_access:  read_only
        .address_space:  global
        .offset:         0
        .size:           8
        .value_kind:     global_buffer
      - .offset:         8
        .size:           4
        .value_kind:     by_value
      - .offset:         12
        .size:           4
        .value_kind:     by_value
      - .actual_access:  read_only
        .address_space:  global
        .offset:         16
        .size:           8
        .value_kind:     global_buffer
      - .actual_access:  read_only
        .address_space:  global
        .offset:         24
        .size:           8
        .value_kind:     global_buffer
      - .actual_access:  read_only
        .address_space:  global
        .offset:         32
        .size:           8
        .value_kind:     global_buffer
      - .address_space:  global
        .offset:         40
        .size:           8
        .value_kind:     global_buffer
      - .actual_access:  read_only
        .address_space:  global
        .offset:         48
        .size:           8
        .value_kind:     global_buffer
      - .actual_access:  read_only
        .address_space:  global
        .offset:         56
        .size:           8
        .value_kind:     global_buffer
      - .offset:         64
        .size:           4
        .value_kind:     by_value
      - .offset:         68
        .size:           4
        .value_kind:     by_value
      - .offset:         72
        .size:           8
        .value_kind:     by_value
      - .offset:         80
        .size:           8
        .value_kind:     by_value
      - .offset:         88
        .size:           4
        .value_kind:     hidden_block_count_x
      - .offset:         92
        .size:           4
        .value_kind:     hidden_block_count_y
      - .offset:         96
        .size:           4
        .value_kind:     hidden_block_count_z
      - .offset:         100
        .size:           2
        .value_kind:     hidden_group_size_x
      - .offset:         102
        .size:           2
        .value_kind:     hidden_group_size_y
      - .offset:         104
        .size:           2
        .value_kind:     hidden_group_size_z
      - .offset:         106
        .size:           2
        .value_kind:     hidden_remainder_x
      - .offset:         108
        .size:           2
        .value_kind:     hidden_remainder_y
      - .offset:         110
        .size:           2
        .value_kind:     hidden_remainder_z
      - .offset:         128
        .size:           8
        .value_kind:     hidden_global_offset_x
      - .offset:         136
        .size:           8
        .value_kind:     hidden_global_offset_y
      - .offset:         144
        .size:           8
        .value_kind:     hidden_global_offset_z
      - .offset:         152
        .size:           2
        .value_kind:     hidden_grid_dims
    .group_segment_fixed_size: 17408
    .kernarg_segment_align: 8
    .kernarg_segment_size: 344
    .language:       OpenCL C
    .language_version:
      - 2
      - 0
    .max_flat_workgroup_size: 1024
    .name:           _Z28moe_mlp2_scatter_mfma_kernelPKiiiPKfS0_S2_PfPK14__hip_bfloat16S6_iixx
    .private_segment_fixed_size: 0
    .sgpr_count:     71
    .sgpr_spill_count: 0
    .symbol:         _Z28moe_mlp2_scatter_mfma_kernelPKiiiPKfS0_S2_PfPK14__hip_bfloat16S6_iixx.kd
    .uniform_work_group_size: 1
    .uses_dynamic_stack: false
    .vgpr_count:     62
    .vgpr_spill_count: 0
    .wavefront_size: 64
  - .agpr_count:     0
    .args:
      - .actual_access:  read_only
        .address_space:  global
        .offset:         0
        .size:           8
        .value_kind:     global_buffer
      - .offset:         8
        .size:           4
        .value_kind:     by_value
      - .offset:         12
        .size:           4
        .value_kind:     by_value
      - .actual_access:  read_only
        .address_space:  global
        .offset:         16
        .size:           8
        .value_kind:     global_buffer
      - .actual_access:  read_only
        .address_space:  global
        .offset:         24
        .size:           8
        .value_kind:     global_buffer
      - .actual_access:  write_only
        .address_space:  global
        .offset:         32
        .size:           8
        .value_kind:     global_buffer
      - .actual_access:  read_only
        .address_space:  global
        .offset:         40
        .size:           8
        .value_kind:     global_buffer
      - .actual_access:  read_only
        .address_space:  global
        .offset:         48
        .size:           8
        .value_kind:     global_buffer
      - .offset:         56
        .size:           4
        .value_kind:     by_value
      - .offset:         60
        .size:           4
        .value_kind:     by_value
      - .offset:         64
        .size:           8
        .value_kind:     by_value
      - .offset:         72
        .size:           8
        .value_kind:     by_value
      - .offset:         80
        .size:           4
        .value_kind:     hidden_block_count_x
      - .offset:         84
        .size:           4
        .value_kind:     hidden_block_count_y
      - .offset:         88
        .size:           4
        .value_kind:     hidden_block_count_z
      - .offset:         92
        .size:           2
        .value_kind:     hidden_group_size_x
      - .offset:         94
        .size:           2
        .value_kind:     hidden_group_size_y
      - .offset:         96
        .size:           2
        .value_kind:     hidden_group_size_z
      - .offset:         98
        .size:           2
        .value_kind:     hidden_remainder_x
      - .offset:         100
        .size:           2
        .value_kind:     hidden_remainder_y
      - .offset:         102
        .size:           2
        .value_kind:     hidden_remainder_z
      - .offset:         120
        .size:           8
        .value_kind:     hidden_global_offset_x
      - .offset:         128
        .size:           8
        .value_kind:     hidden_global_offset_y
      - .offset:         136
        .size:           8
        .value_kind:     hidden_global_offset_z
      - .offset:         144
        .size:           2
        .value_kind:     hidden_grid_dims
    .group_segment_fixed_size: 17408
    .kernarg_segment_align: 8
    .kernarg_segment_size: 336
    .language:       OpenCL C
    .language_version:
      - 2
      - 0
    .max_flat_workgroup_size: 1024
    .name:           _Z26moe_mlp2_store_mfma_kernelPKiiiPKfS2_PfPK14__hip_bfloat16S6_iixx
    .private_segment_fixed_size: 0
    .sgpr_count:     61
    .sgpr_spill_count: 0
    .symbol:         _Z26moe_mlp2_store_mfma_kernelPKiiiPKfS2_PfPK14__hip_bfloat16S6_iixx.kd
    .uniform_work_group_size: 1
    .uses_dynamic_stack: false
    .vgpr_count:     62
    .vgpr_spill_count: 0
    .wavefront_size: 64
  - .agpr_count:     0
    .args:
      - .actual_access:  read_only
        .address_space:  global
        .offset:         0
        .size:           8
        .value_kind:     global_buffer
      - .actual_access:  read_only
        .address_space:  global
        .offset:         8
        .size:           8
        .value_kind:     global_buffer
      - .offset:         16
        .size:           4
        .value_kind:     by_value
      - .offset:         20
        .size:           4
        .value_kind:     by_value
      - .offset:         24
        .size:           4
        .value_kind:     by_value
      - .address_space:  global
        .offset:         32
        .size:           8
        .value_kind:     global_buffer
      - .offset:         40
        .size:           4
        .value_kind:     hidden_block_count_x
      - .offset:         44
        .size:           4
        .value_kind:     hidden_block_count_y
      - .offset:         48
        .size:           4
        .value_kind:     hidden_block_count_z
      - .offset:         52
        .size:           2
        .value_kind:     hidden_group_size_x
      - .offset:         54
        .size:           2
        .value_kind:     hidden_group_size_y
      - .offset:         56
        .size:           2
        .value_kind:     hidden_group_size_z
      - .offset:         58
        .size:           2
        .value_kind:     hidden_remainder_x
      - .offset:         60
        .size:           2
        .value_kind:     hidden_remainder_y
      - .offset:         62
        .size:           2
        .value_kind:     hidden_remainder_z
      - .offset:         80
        .size:           8
        .value_kind:     hidden_global_offset_x
      - .offset:         88
        .size:           8
        .value_kind:     hidden_global_offset_y
      - .offset:         96
        .size:           8
        .value_kind:     hidden_global_offset_z
      - .offset:         104
        .size:           2
        .value_kind:     hidden_grid_dims
    .group_segment_fixed_size: 0
    .kernarg_segment_align: 8
    .kernarg_segment_size: 296
    .language:       OpenCL C
    .language_version:
      - 2
      - 0
    .max_flat_workgroup_size: 1024
    .name:           _Z36accumulate_remote_assignments_kernelPKfPKiiiiPf
    .private_segment_fixed_size: 0
    .sgpr_count:     18
    .sgpr_spill_count: 0
    .symbol:         _Z36accumulate_remote_assignments_kernelPKfPKiiiiPf.kd
    .uniform_work_group_size: 1
    .uses_dynamic_stack: false
    .vgpr_count:     8
    .vgpr_spill_count: 0
    .wavefront_size: 64
  - .agpr_count:     0
    .args:
      - .address_space:  global
        .offset:         0
        .size:           8
        .value_kind:     global_buffer
      - .address_space:  global
        .offset:         8
        .size:           8
        .value_kind:     global_buffer
      - .address_space:  global
        .offset:         16
        .size:           8
        .value_kind:     global_buffer
      - .offset:         24
        .size:           4
        .value_kind:     by_value
      - .offset:         28
        .size:           4
        .value_kind:     by_value
      - .offset:         32
        .size:           4
        .value_kind:     hidden_block_count_x
      - .offset:         36
        .size:           4
        .value_kind:     hidden_block_count_y
      - .offset:         40
        .size:           4
        .value_kind:     hidden_block_count_z
      - .offset:         44
        .size:           2
        .value_kind:     hidden_group_size_x
      - .offset:         46
        .size:           2
        .value_kind:     hidden_group_size_y
      - .offset:         48
        .size:           2
        .value_kind:     hidden_group_size_z
      - .offset:         50
        .size:           2
        .value_kind:     hidden_remainder_x
      - .offset:         52
        .size:           2
        .value_kind:     hidden_remainder_y
      - .offset:         54
        .size:           2
        .value_kind:     hidden_remainder_z
      - .offset:         72
        .size:           8
        .value_kind:     hidden_global_offset_x
      - .offset:         80
        .size:           8
        .value_kind:     hidden_global_offset_y
      - .offset:         88
        .size:           8
        .value_kind:     hidden_global_offset_z
      - .offset:         96
        .size:           2
        .value_kind:     hidden_grid_dims
    .group_segment_fixed_size: 68
    .kernarg_segment_align: 8
    .kernarg_segment_size: 288
    .language:       OpenCL C
    .language_version:
      - 2
      - 0
    .max_flat_workgroup_size: 1024
    .name:           _Z14rmsnorm_kernelPfS_P14__hip_bfloat16ii
    .private_segment_fixed_size: 0
    .sgpr_count:     22
    .sgpr_spill_count: 0
    .symbol:         _Z14rmsnorm_kernelPfS_P14__hip_bfloat16ii.kd
    .uniform_work_group_size: 1
    .uses_dynamic_stack: false
    .vgpr_count:     11
    .vgpr_spill_count: 0
    .wavefront_size: 64
  - .agpr_count:     0
    .args:
      - .address_space:  global
        .offset:         0
        .size:           8
        .value_kind:     global_buffer
      - .address_space:  global
        .offset:         8
        .size:           8
        .value_kind:     global_buffer
      - .offset:         16
        .size:           4
        .value_kind:     by_value
      - .offset:         20
        .size:           4
        .value_kind:     by_value
      - .offset:         24
        .size:           4
        .value_kind:     by_value
      - .offset:         28
        .size:           4
        .value_kind:     by_value
      - .offset:         32
        .size:           4
        .value_kind:     by_value
      - .offset:         36
        .size:           4
        .value_kind:     by_value
      - .offset:         40
        .size:           4
        .value_kind:     by_value
      - .actual_access:  read_only
        .address_space:  global
        .offset:         48
        .size:           8
        .value_kind:     global_buffer
      - .offset:         56
        .size:           4
        .value_kind:     by_value
      - .actual_access:  read_only
        .address_space:  global
        .offset:         64
        .size:           8
        .value_kind:     global_buffer
      - .offset:         72
        .size:           8
        .value_kind:     by_value
      - .offset:         80
        .size:           4
        .value_kind:     by_value
      - .offset:         84
        .size:           4
        .value_kind:     by_value
      - .offset:         88
        .size:           4
        .value_kind:     by_value
      - .offset:         92
        .size:           4
        .value_kind:     by_value
      - .offset:         96
        .size:           4
        .value_kind:     by_value
      - .actual_access:  read_only
        .address_space:  global
        .offset:         104
        .size:           8
        .value_kind:     global_buffer
      - .actual_access:  read_only
        .address_space:  global
        .offset:         112
        .size:           8
        .value_kind:     global_buffer
      - .actual_access:  read_only
        .address_space:  global
        .offset:         120
        .size:           8
        .value_kind:     global_buffer
      - .offset:         128
        .size:           4
        .value_kind:     hidden_block_count_x
      - .offset:         132
        .size:           4
        .value_kind:     hidden_block_count_y
      - .offset:         136
        .size:           4
        .value_kind:     hidden_block_count_z
      - .offset:         140
        .size:           2
        .value_kind:     hidden_group_size_x
      - .offset:         142
        .size:           2
        .value_kind:     hidden_group_size_y
      - .offset:         144
        .size:           2
        .value_kind:     hidden_group_size_z
      - .offset:         146
        .size:           2
        .value_kind:     hidden_remainder_x
      - .offset:         148
        .size:           2
        .value_kind:     hidden_remainder_y
      - .offset:         150
        .size:           2
        .value_kind:     hidden_remainder_z
      - .offset:         168
        .size:           8
        .value_kind:     hidden_global_offset_x
      - .offset:         176
        .size:           8
        .value_kind:     hidden_global_offset_y
      - .offset:         184
        .size:           8
        .value_kind:     hidden_global_offset_z
      - .offset:         192
        .size:           2
        .value_kind:     hidden_grid_dims
    .group_segment_fixed_size: 0
    .kernarg_segment_align: 8
    .kernarg_segment_size: 384
    .language:       OpenCL C
    .language_version:
      - 2
      - 0
    .max_flat_workgroup_size: 1024
    .name:           _Z14rope_qk_kernelPfPviiiiiiiPKiiS2_xfffffPKxS2_S2_
    .private_segment_fixed_size: 0
    .sgpr_count:     60
    .sgpr_spill_count: 0
    .symbol:         _Z14rope_qk_kernelPfPviiiiiiiPKiiS2_xfffffPKxS2_S2_.kd
    .uniform_work_group_size: 1
    .uses_dynamic_stack: false
    .vgpr_count:     28
    .vgpr_spill_count: 0
    .wavefront_size: 64
  - .agpr_count:     0
    .args:
      - .actual_access:  read_only
        .address_space:  global
        .offset:         0
        .size:           8
        .value_kind:     global_buffer
      - .actual_access:  read_only
        .address_space:  global
        .offset:         8
        .size:           8
        .value_kind:     global_buffer
      - .offset:         16
        .size:           4
        .value_kind:     by_value
      - .offset:         20
        .size:           4
        .value_kind:     by_value
      - .actual_access:  write_only
        .address_space:  global
        .offset:         24
        .size:           8
        .value_kind:     global_buffer
      - .actual_access:  write_only
        .address_space:  global
        .offset:         32
        .size:           8
        .value_kind:     global_buffer
      - .actual_access:  write_only
        .address_space:  global
        .offset:         40
        .size:           8
        .value_kind:     global_buffer
      - .address_space:  global
        .offset:         48
        .size:           8
        .value_kind:     global_buffer
      - .offset:         56
        .size:           4
        .value_kind:     by_value
      - .offset:         64
        .size:           4
        .value_kind:     hidden_block_count_x
      - .offset:         68
        .size:           4
        .value_kind:     hidden_block_count_y
      - .offset:         72
        .size:           4
        .value_kind:     hidden_block_count_z
      - .offset:         76
        .size:           2
        .value_kind:     hidden_group_size_x
      - .offset:         78
        .size:           2
        .value_kind:     hidden_group_size_y
      - .offset:         80
        .size:           2
        .value_kind:     hidden_group_size_z
      - .offset:         82
        .size:           2
        .value_kind:     hidden_remainder_x
      - .offset:         84
        .size:           2
        .value_kind:     hidden_remainder_y
      - .offset:         86
        .size:           2
        .value_kind:     hidden_remainder_z
      - .offset:         104
        .size:           8
        .value_kind:     hidden_global_offset_x
      - .offset:         112
        .size:           8
        .value_kind:     hidden_global_offset_y
      - .offset:         120
        .size:           8
        .value_kind:     hidden_global_offset_z
      - .offset:         128
        .size:           2
        .value_kind:     hidden_grid_dims
    .group_segment_fixed_size: 0
    .kernarg_segment_align: 8
    .kernarg_segment_size: 320
    .language:       OpenCL C
    .language_version:
      - 2
      - 0
    .max_flat_workgroup_size: 1024
    .name:           _Z23count_tokens_per_expertPKiPKfiiPiS3_PfS3_i
    .private_segment_fixed_size: 0
    .sgpr_count:     18
    .sgpr_spill_count: 0
    .symbol:         _Z23count_tokens_per_expertPKiPKfiiPiS3_PfS3_i.kd
    .uniform_work_group_size: 1
    .uses_dynamic_stack: false
    .vgpr_count:     13
    .vgpr_spill_count: 0
    .wavefront_size: 64
  - .agpr_count:     0
    .args:
      - .address_space:  global
        .offset:         0
        .size:           8
        .value_kind:     global_buffer
      - .actual_access:  write_only
        .address_space:  global
        .offset:         8
        .size:           8
        .value_kind:     global_buffer
      - .offset:         16
        .size:           4
        .value_kind:     by_value
    .group_segment_fixed_size: 0
    .kernarg_segment_align: 8
    .kernarg_segment_size: 20
    .language:       OpenCL C
    .language_version:
      - 2
      - 0
    .max_flat_workgroup_size: 1024
    .name:           _Z29exclusive_scan_expert_offsetsPiS_i
    .private_segment_fixed_size: 0
    .sgpr_count:     18
    .sgpr_spill_count: 0
    .symbol:         _Z29exclusive_scan_expert_offsetsPiS_i.kd
    .uniform_work_group_size: 1
    .uses_dynamic_stack: false
    .vgpr_count:     18
    .vgpr_spill_count: 0
    .wavefront_size: 64
  - .agpr_count:     0
    .args:
      - .actual_access:  read_only
        .address_space:  global
        .offset:         0
        .size:           8
        .value_kind:     global_buffer
      - .actual_access:  read_only
        .address_space:  global
        .offset:         8
        .size:           8
        .value_kind:     global_buffer
      - .actual_access:  read_only
        .address_space:  global
        .offset:         16
        .size:           8
        .value_kind:     global_buffer
      - .offset:         24
        .size:           4
        .value_kind:     by_value
      - .actual_access:  read_only
        .address_space:  global
        .offset:         32
        .size:           8
        .value_kind:     global_buffer
      - .address_space:  global
        .offset:         40
        .size:           8
        .value_kind:     global_buffer
      - .actual_access:  write_only
        .address_space:  global
        .offset:         48
        .size:           8
        .value_kind:     global_buffer
      - .actual_access:  write_only
        .address_space:  global
        .offset:         56
        .size:           8
        .value_kind:     global_buffer
      - .offset:         64
        .size:           4
        .value_kind:     hidden_block_count_x
      - .offset:         68
        .size:           4
        .value_kind:     hidden_block_count_y
      - .offset:         72
        .size:           4
        .value_kind:     hidden_block_count_z
      - .offset:         76
        .size:           2
        .value_kind:     hidden_group_size_x
      - .offset:         78
        .size:           2
        .value_kind:     hidden_group_size_y
      - .offset:         80
        .size:           2
        .value_kind:     hidden_group_size_z
      - .offset:         82
        .size:           2
        .value_kind:     hidden_remainder_x
      - .offset:         84
        .size:           2
        .value_kind:     hidden_remainder_y
      - .offset:         86
        .size:           2
        .value_kind:     hidden_remainder_z
      - .offset:         104
        .size:           8
        .value_kind:     hidden_global_offset_x
      - .offset:         112
        .size:           8
        .value_kind:     hidden_global_offset_y
      - .offset:         120
        .size:           8
        .value_kind:     hidden_global_offset_z
      - .offset:         128
        .size:           2
        .value_kind:     hidden_grid_dims
    .group_segment_fixed_size: 0
    .kernarg_segment_align: 8
    .kernarg_segment_size: 320
    .language:       OpenCL C
    .language_version:
      - 2
      - 0
    .max_flat_workgroup_size: 1024
    .name:           _Z24compact_by_expert_kernelPKiS0_PKfiS0_PiS3_Pf
    .private_segment_fixed_size: 0
    .sgpr_count:     18
    .sgpr_spill_count: 0
    .symbol:         _Z24compact_by_expert_kernelPKiS0_PKfiS0_PiS3_Pf.kd
    .uniform_work_group_size: 1
    .uses_dynamic_stack: false
    .vgpr_count:     9
    .vgpr_spill_count: 0
    .wavefront_size: 64
  - .agpr_count:     0
    .args:
      - .actual_access:  read_only
        .address_space:  global
        .offset:         0
        .size:           8
        .value_kind:     global_buffer
      - .actual_access:  read_only
        .address_space:  global
        .offset:         8
        .size:           8
        .value_kind:     global_buffer
      - .actual_access:  write_only
        .address_space:  global
        .offset:         16
        .size:           8
        .value_kind:     global_buffer
      - .offset:         24
        .size:           4
        .value_kind:     by_value
      - .offset:         28
        .size:           4
        .value_kind:     by_value
      - .offset:         32
        .size:           4
        .value_kind:     hidden_block_count_x
      - .offset:         36
        .size:           4
        .value_kind:     hidden_block_count_y
      - .offset:         40
        .size:           4
        .value_kind:     hidden_block_count_z
      - .offset:         44
        .size:           2
        .value_kind:     hidden_group_size_x
      - .offset:         46
        .size:           2
        .value_kind:     hidden_group_size_y
      - .offset:         48
        .size:           2
        .value_kind:     hidden_group_size_z
      - .offset:         50
        .size:           2
        .value_kind:     hidden_remainder_x
      - .offset:         52
        .size:           2
        .value_kind:     hidden_remainder_y
      - .offset:         54
        .size:           2
        .value_kind:     hidden_remainder_z
      - .offset:         72
        .size:           8
        .value_kind:     hidden_global_offset_x
      - .offset:         80
        .size:           8
        .value_kind:     hidden_global_offset_y
      - .offset:         88
        .size:           8
        .value_kind:     hidden_global_offset_z
      - .offset:         96
        .size:           2
        .value_kind:     hidden_grid_dims
    .group_segment_fixed_size: 0
    .kernarg_segment_align: 8
    .kernarg_segment_size: 288
    .language:       OpenCL C
    .language_version:
      - 2
      - 0
    .max_flat_workgroup_size: 1024
    .name:           _Z23gather_rows_vec4_kernelPKfPKiPfii
    .private_segment_fixed_size: 0
    .sgpr_count:     16
    .sgpr_spill_count: 0
    .symbol:         _Z23gather_rows_vec4_kernelPKfPKiPfii.kd
    .uniform_work_group_size: 1
    .uses_dynamic_stack: false
    .vgpr_count:     7
    .vgpr_spill_count: 0
    .wavefront_size: 64
  - .agpr_count:     0
    .args:
      - .actual_access:  read_only
        .address_space:  global
        .offset:         0
        .size:           8
        .value_kind:     global_buffer
      - .actual_access:  read_only
        .address_space:  global
        .offset:         8
        .size:           8
        .value_kind:     global_buffer
      - .actual_access:  write_only
        .address_space:  global
        .offset:         16
        .size:           8
        .value_kind:     global_buffer
      - .offset:         24
        .size:           4
        .value_kind:     by_value
      - .offset:         28
        .size:           4
        .value_kind:     by_value
      - .offset:         32
        .size:           4
        .value_kind:     hidden_block_count_x
      - .offset:         36
        .size:           4
        .value_kind:     hidden_block_count_y
      - .offset:         40
        .size:           4
        .value_kind:     hidden_block_count_z
      - .offset:         44
        .size:           2
        .value_kind:     hidden_group_size_x
      - .offset:         46
        .size:           2
        .value_kind:     hidden_group_size_y
      - .offset:         48
        .size:           2
        .value_kind:     hidden_group_size_z
      - .offset:         50
        .size:           2
        .value_kind:     hidden_remainder_x
      - .offset:         52
        .size:           2
        .value_kind:     hidden_remainder_y
      - .offset:         54
        .size:           2
        .value_kind:     hidden_remainder_z
      - .offset:         72
        .size:           8
        .value_kind:     hidden_global_offset_x
      - .offset:         80
        .size:           8
        .value_kind:     hidden_global_offset_y
      - .offset:         88
        .size:           8
        .value_kind:     hidden_global_offset_z
      - .offset:         96
        .size:           2
        .value_kind:     hidden_grid_dims
    .group_segment_fixed_size: 0
    .kernarg_segment_align: 8
    .kernarg_segment_size: 288
    .language:       OpenCL C
    .language_version:
      - 2
      - 0
    .max_flat_workgroup_size: 1024
    .name:           _Z18gather_rows_kernelPKfPKiPfii
    .private_segment_fixed_size: 0
    .sgpr_count:     16
    .sgpr_spill_count: 0
    .symbol:         _Z18gather_rows_kernelPKfPKiPfii.kd
    .uniform_work_group_size: 1
    .uses_dynamic_stack: false
    .vgpr_count:     4
    .vgpr_spill_count: 0
    .wavefront_size: 64
  - .agpr_count:     0
    .args:
      - .actual_access:  read_only
        .address_space:  global
        .offset:         0
        .size:           8
        .value_kind:     global_buffer
      - .actual_access:  write_only
        .address_space:  global
        .offset:         8
        .size:           8
        .value_kind:     global_buffer
      - .actual_access:  write_only
        .address_space:  global
        .offset:         16
        .size:           8
        .value_kind:     global_buffer
      - .offset:         24
        .size:           4
        .value_kind:     by_value
    .group_segment_fixed_size: 0
    .kernarg_segment_align: 8
    .kernarg_segment_size: 28
    .language:       OpenCL C
    .language_version:
      - 2
      - 0
    .max_flat_workgroup_size: 1024
    .name:           _Z23build_expert_work_queuePKiPiP4Int2i
    .private_segment_fixed_size: 0
    .sgpr_count:     20
    .sgpr_spill_count: 0
    .symbol:         _Z23build_expert_work_queuePKiPiP4Int2i.kd
    .uniform_work_group_size: 1
    .uses_dynamic_stack: false
    .vgpr_count:     5
    .vgpr_spill_count: 0
    .wavefront_size: 64
  - .agpr_count:     0
    .args:
      - .actual_access:  read_only
        .address_space:  global
        .offset:         0
        .size:           8
        .value_kind:     global_buffer
      - .offset:         8
        .size:           4
        .value_kind:     by_value
      - .offset:         12
        .size:           4
        .value_kind:     by_value
      - .offset:         16
        .size:           4
        .value_kind:     by_value
      - .offset:         20
        .size:           4
        .value_kind:     by_value
      - .actual_access:  write_only
        .address_space:  global
        .offset:         24
        .size:           8
        .value_kind:     global_buffer
      - .actual_access:  write_only
        .address_space:  global
        .offset:         32
        .size:           8
        .value_kind:     global_buffer
      - .actual_access:  write_only
        .address_space:  global
        .offset:         40
        .size:           8
        .value_kind:     global_buffer
    .group_segment_fixed_size: 0
    .kernarg_segment_align: 8
    .kernarg_segment_size: 48
    .language:       OpenCL C
    .language_version:
      - 2
      - 0
    .max_flat_workgroup_size: 1024
    .name:           _Z25classify_and_build_queuesPKiiiffPiS1_P8MoEStats
    .private_segment_fixed_size: 0
    .sgpr_count:     32
    .sgpr_spill_count: 0
    .symbol:         _Z25classify_and_build_queuesPKiiiffPiS1_P8MoEStats.kd
    .uniform_work_group_size: 1
    .uses_dynamic_stack: false
    .vgpr_count:     7
    .vgpr_spill_count: 0
    .wavefront_size: 64
  - .agpr_count:     0
    .args:
      - .address_space:  global
        .offset:         0
        .size:           8
        .value_kind:     global_buffer
      - .offset:         8
        .size:           4
        .value_kind:     by_value
      - .offset:         12
        .size:           4
        .value_kind:     by_value
      - .offset:         16
        .size:           4
        .value_kind:     hidden_block_count_x
      - .offset:         20
        .size:           4
        .value_kind:     hidden_block_count_y
      - .offset:         24
        .size:           4
        .value_kind:     hidden_block_count_z
      - .offset:         28
        .size:           2
        .value_kind:     hidden_group_size_x
      - .offset:         30
        .size:           2
        .value_kind:     hidden_group_size_y
      - .offset:         32
        .size:           2
        .value_kind:     hidden_group_size_z
      - .offset:         34
        .size:           2
        .value_kind:     hidden_remainder_x
      - .offset:         36
        .size:           2
        .value_kind:     hidden_remainder_y
      - .offset:         38
        .size:           2
        .value_kind:     hidden_remainder_z
      - .offset:         56
        .size:           8
        .value_kind:     hidden_global_offset_x
      - .offset:         64
        .size:           8
        .value_kind:     hidden_global_offset_y
      - .offset:         72
        .size:           8
        .value_kind:     hidden_global_offset_z
      - .offset:         80
        .size:           2
        .value_kind:     hidden_grid_dims
    .group_segment_fixed_size: 136
    .kernarg_segment_align: 8
    .kernarg_segment_size: 272
    .language:       OpenCL C
    .language_version:
      - 2
      - 0
    .max_flat_workgroup_size: 1024
    .name:           _Z14softmax_kernelPfii
    .private_segment_fixed_size: 0
    .sgpr_count:     29
    .sgpr_spill_count: 0
    .symbol:         _Z14softmax_kernelPfii.kd
    .uniform_work_group_size: 1
    .uses_dynamic_stack: false
    .vgpr_count:     22
    .vgpr_spill_count: 0
    .wavefront_size: 64
  - .agpr_count:     0
    .args:
      - .address_space:  global
        .offset:         0
        .size:           8
        .value_kind:     global_buffer
      - .address_space:  global
        .offset:         8
        .size:           8
        .value_kind:     global_buffer
      - .address_space:  global
        .offset:         16
        .size:           8
        .value_kind:     global_buffer
      - .offset:         24
        .size:           4
        .value_kind:     by_value
      - .offset:         28
        .size:           4
        .value_kind:     by_value
      - .offset:         32
        .size:           4
        .value_kind:     by_value
    .group_segment_fixed_size: 8192
    .kernarg_segment_align: 8
    .kernarg_segment_size: 36
    .language:       OpenCL C
    .language_version:
      - 2
      - 0
    .max_flat_workgroup_size: 1024
    .name:           _Z11topk_kernelPfS_Piiii
    .private_segment_fixed_size: 0
    .sgpr_count:     26
    .sgpr_spill_count: 0
    .symbol:         _Z11topk_kernelPfS_Piiii.kd
    .uniform_work_group_size: 1
    .uses_dynamic_stack: false
    .vgpr_count:     9
    .vgpr_spill_count: 0
    .wavefront_size: 64
  - .agpr_count:     0
    .args:
      - .address_space:  global
        .offset:         0
        .size:           8
        .value_kind:     global_buffer
      - .address_space:  global
        .offset:         8
        .size:           8
        .value_kind:     global_buffer
      - .offset:         16
        .size:           4
        .value_kind:     by_value
      - .offset:         20
        .size:           4
        .value_kind:     by_value
      - .offset:         24
        .size:           4
        .value_kind:     by_value
      - .offset:         32
        .size:           4
        .value_kind:     hidden_block_count_x
      - .offset:         36
        .size:           4
        .value_kind:     hidden_block_count_y
      - .offset:         40
        .size:           4
        .value_kind:     hidden_block_count_z
      - .offset:         44
        .size:           2
        .value_kind:     hidden_group_size_x
      - .offset:         46
        .size:           2
        .value_kind:     hidden_group_size_y
      - .offset:         48
        .size:           2
        .value_kind:     hidden_group_size_z
      - .offset:         50
        .size:           2
        .value_kind:     hidden_remainder_x
      - .offset:         52
        .size:           2
        .value_kind:     hidden_remainder_y
      - .offset:         54
        .size:           2
        .value_kind:     hidden_remainder_z
      - .offset:         72
        .size:           8
        .value_kind:     hidden_global_offset_x
      - .offset:         80
        .size:           8
        .value_kind:     hidden_global_offset_y
      - .offset:         88
        .size:           8
        .value_kind:     hidden_global_offset_z
      - .offset:         96
        .size:           2
        .value_kind:     hidden_grid_dims
    .group_segment_fixed_size: 0
    .kernarg_segment_align: 8
    .kernarg_segment_size: 288
    .language:       OpenCL C
    .language_version:
      - 2
      - 0
    .max_flat_workgroup_size: 1024
    .name:           _Z13vecadd_kernelPfS_fii
    .private_segment_fixed_size: 0
    .sgpr_count:     16
    .sgpr_spill_count: 0
    .symbol:         _Z13vecadd_kernelPfS_fii.kd
    .uniform_work_group_size: 1
    .uses_dynamic_stack: false
    .vgpr_count:     4
    .vgpr_spill_count: 0
    .wavefront_size: 64
  - .agpr_count:     0
    .args:
      - .address_space:  global
        .offset:         0
        .size:           8
        .value_kind:     global_buffer
      - .address_space:  global
        .offset:         8
        .size:           8
        .value_kind:     global_buffer
      - .offset:         16
        .size:           4
        .value_kind:     by_value
      - .offset:         20
        .size:           4
        .value_kind:     by_value
      - .offset:         24
        .size:           4
        .value_kind:     by_value
      - .offset:         32
        .size:           4
        .value_kind:     hidden_block_count_x
      - .offset:         36
        .size:           4
        .value_kind:     hidden_block_count_y
      - .offset:         40
        .size:           4
        .value_kind:     hidden_block_count_z
      - .offset:         44
        .size:           2
        .value_kind:     hidden_group_size_x
      - .offset:         46
        .size:           2
        .value_kind:     hidden_group_size_y
      - .offset:         48
        .size:           2
        .value_kind:     hidden_group_size_z
      - .offset:         50
        .size:           2
        .value_kind:     hidden_remainder_x
      - .offset:         52
        .size:           2
        .value_kind:     hidden_remainder_y
      - .offset:         54
        .size:           2
        .value_kind:     hidden_remainder_z
      - .offset:         72
        .size:           8
        .value_kind:     hidden_global_offset_x
      - .offset:         80
        .size:           8
        .value_kind:     hidden_global_offset_y
      - .offset:         88
        .size:           8
        .value_kind:     hidden_global_offset_z
      - .offset:         96
        .size:           2
        .value_kind:     hidden_grid_dims
    .group_segment_fixed_size: 0
    .kernarg_segment_align: 8
    .kernarg_segment_size: 288
    .language:       OpenCL C
    .language_version:
      - 2
      - 0
    .max_flat_workgroup_size: 1024
    .name:           _Z22vecadd_and_zero_kernelPfS_fii
    .private_segment_fixed_size: 0
    .sgpr_count:     16
    .sgpr_spill_count: 0
    .symbol:         _Z22vecadd_and_zero_kernelPfS_fii.kd
    .uniform_work_group_size: 1
    .uses_dynamic_stack: false
    .vgpr_count:     7
    .vgpr_spill_count: 0
    .wavefront_size: 64
  - .agpr_count:     0
    .args:
      - .actual_access:  read_only
        .address_space:  global
        .offset:         0
        .size:           8
        .value_kind:     global_buffer
      - .actual_access:  read_only
        .address_space:  global
        .offset:         8
        .size:           8
        .value_kind:     global_buffer
      - .actual_access:  read_only
        .address_space:  global
        .offset:         16
        .size:           8
        .value_kind:     global_buffer
      - .actual_access:  read_only
        .address_space:  global
        .offset:         24
        .size:           8
        .value_kind:     global_buffer
      - .actual_access:  read_only
        .address_space:  global
        .offset:         32
        .size:           8
        .value_kind:     global_buffer
      - .actual_access:  write_only
        .address_space:  global
        .offset:         40
        .size:           8
        .value_kind:     global_buffer
      - .offset:         48
        .size:           4
        .value_kind:     by_value
      - .offset:         52
        .size:           4
        .value_kind:     by_value
      - .offset:         56
        .size:           4
        .value_kind:     by_value
      - .offset:         60
        .size:           4
        .value_kind:     by_value
      - .offset:         64
        .size:           4
        .value_kind:     by_value
      - .offset:         68
        .size:           4
        .value_kind:     by_value
      - .offset:         72
        .size:           4
        .value_kind:     by_value
      - .offset:         76
        .size:           4
        .value_kind:     by_value
      - .actual_access:  read_only
        .address_space:  global
        .offset:         80
        .size:           8
        .value_kind:     global_buffer
      - .actual_access:  read_only
        .address_space:  global
        .offset:         88
        .size:           8
        .value_kind:     global_buffer
      - .offset:         96
        .size:           8
        .value_kind:     by_value
      - .actual_access:  read_only
        .address_space:  global
        .offset:         104
        .size:           8
        .value_kind:     global_buffer
      - .actual_access:  read_only
        .address_space:  global
        .offset:         112
        .size:           8
        .value_kind:     global_buffer
      - .actual_access:  read_only
        .address_space:  global
        .offset:         120
        .size:           8
        .value_kind:     global_buffer
      - .offset:         128
        .size:           4
        .value_kind:     by_value
    .group_segment_fixed_size: 4992
    .kernarg_segment_align: 8
    .kernarg_segment_size: 132
    .language:       OpenCL C
    .language_version:
      - 2
      - 0
    .max_flat_workgroup_size: 1024
    .name:           _Z22fa2_decode_mfma_head64I14__hip_bfloat16Lb1ELi16ELi16EEvPKfPKvS4_S2_PKS0_PfiiiiiiiiPKiS9_xPKxS9_S9_i
    .private_segment_fixed_size: 0
    .sgpr_count:     95
    .sgpr_spill_count: 0
    .symbol:         _Z22fa2_decode_mfma_head64I14__hip_bfloat16Lb1ELi16ELi16EEvPKfPKvS4_S2_PKS0_PfiiiiiiiiPKiS9_xPKxS9_S9_i.kd
    .uniform_work_group_size: 1
    .uses_dynamic_stack: false
    .vgpr_count:     99
    .vgpr_spill_count: 0
    .wavefront_size: 64
  - .agpr_count:     0
    .args:
      - .actual_access:  read_only
        .address_space:  global
        .offset:         0
        .size:           8
        .value_kind:     global_buffer
      - .actual_access:  read_only
        .address_space:  global
        .offset:         8
        .size:           8
        .value_kind:     global_buffer
      - .actual_access:  read_only
        .address_space:  global
        .offset:         16
        .size:           8
        .value_kind:     global_buffer
      - .actual_access:  read_only
        .address_space:  global
        .offset:         24
        .size:           8
        .value_kind:     global_buffer
      - .actual_access:  read_only
        .address_space:  global
        .offset:         32
        .size:           8
        .value_kind:     global_buffer
      - .actual_access:  write_only
        .address_space:  global
        .offset:         40
        .size:           8
        .value_kind:     global_buffer
      - .offset:         48
        .size:           4
        .value_kind:     by_value
      - .offset:         52
        .size:           4
        .value_kind:     by_value
      - .offset:         56
        .size:           4
        .value_kind:     by_value
      - .offset:         60
        .size:           4
        .value_kind:     by_value
      - .offset:         64
        .size:           4
        .value_kind:     by_value
      - .offset:         68
        .size:           4
        .value_kind:     by_value
      - .offset:         72
        .size:           4
        .value_kind:     by_value
      - .offset:         76
        .size:           4
        .value_kind:     by_value
      - .actual_access:  read_only
        .address_space:  global
        .offset:         80
        .size:           8
        .value_kind:     global_buffer
      - .actual_access:  read_only
        .address_space:  global
        .offset:         88
        .size:           8
        .value_kind:     global_buffer
      - .offset:         96
        .size:           8
        .value_kind:     by_value
      - .actual_access:  read_only
        .address_space:  global
        .offset:         104
        .size:           8
        .value_kind:     global_buffer
      - .actual_access:  read_only
        .address_space:  global
        .offset:         112
        .size:           8
        .value_kind:     global_buffer
      - .actual_access:  read_only
        .address_space:  global
        .offset:         120
        .size:           8
        .value_kind:     global_buffer
      - .offset:         128
        .size:           4
        .value_kind:     by_value
    .group_segment_fixed_size: 4992
    .kernarg_segment_align: 8
    .kernarg_segment_size: 132
    .language:       OpenCL C
    .language_version:
      - 2
      - 0
    .max_flat_workgroup_size: 1024
    .name:           _Z22fa2_decode_mfma_head64I14__hip_bfloat16Lb0ELi16ELi16EEvPKfPKvS4_S2_PKS0_PfiiiiiiiiPKiS9_xPKxS9_S9_i
    .private_segment_fixed_size: 0
    .sgpr_count:     86
    .sgpr_spill_count: 0
    .symbol:         _Z22fa2_decode_mfma_head64I14__hip_bfloat16Lb0ELi16ELi16EEvPKfPKvS4_S2_PKS0_PfiiiiiiiiPKiS9_xPKxS9_S9_i.kd
    .uniform_work_group_size: 1
    .uses_dynamic_stack: false
    .vgpr_count:     96
    .vgpr_spill_count: 0
    .wavefront_size: 64
  - .agpr_count:     0
    .args:
      - .actual_access:  read_only
        .address_space:  global
        .offset:         0
        .size:           8
        .value_kind:     global_buffer
      - .actual_access:  read_only
        .address_space:  global
        .offset:         8
        .size:           8
        .value_kind:     global_buffer
      - .actual_access:  read_only
        .address_space:  global
        .offset:         16
        .size:           8
        .value_kind:     global_buffer
      - .actual_access:  read_only
        .address_space:  global
        .offset:         24
        .size:           8
        .value_kind:     global_buffer
      - .actual_access:  read_only
        .address_space:  global
        .offset:         32
        .size:           8
        .value_kind:     global_buffer
      - .actual_access:  write_only
        .address_space:  global
        .offset:         40
        .size:           8
        .value_kind:     global_buffer
      - .offset:         48
        .size:           4
        .value_kind:     by_value
      - .offset:         52
        .size:           4
        .value_kind:     by_value
      - .offset:         56
        .size:           4
        .value_kind:     by_value
      - .offset:         60
        .size:           4
        .value_kind:     by_value
      - .offset:         64
        .size:           4
        .value_kind:     by_value
      - .offset:         68
        .size:           4
        .value_kind:     by_value
      - .offset:         72
        .size:           4
        .value_kind:     by_value
      - .offset:         76
        .size:           4
        .value_kind:     by_value
      - .actual_access:  read_only
        .address_space:  global
        .offset:         80
        .size:           8
        .value_kind:     global_buffer
      - .actual_access:  read_only
        .address_space:  global
        .offset:         88
        .size:           8
        .value_kind:     global_buffer
      - .offset:         96
        .size:           8
        .value_kind:     by_value
      - .actual_access:  read_only
        .address_space:  global
        .offset:         104
        .size:           8
        .value_kind:     global_buffer
      - .actual_access:  read_only
        .address_space:  global
        .offset:         112
        .size:           8
        .value_kind:     global_buffer
      - .actual_access:  read_only
        .address_space:  global
        .offset:         120
        .size:           8
        .value_kind:     global_buffer
      - .offset:         128
        .size:           4
        .value_kind:     by_value
    .group_segment_fixed_size: 4992
    .kernarg_segment_align: 8
    .kernarg_segment_size: 132
    .language:       OpenCL C
    .language_version:
      - 2
      - 0
    .max_flat_workgroup_size: 1024
    .name:           _Z22fa2_decode_mfma_head64IfLb1ELi16ELi16EEvPKfPKvS3_S1_PK14__hip_bfloat16PfiiiiiiiiPKiS9_xPKxS9_S9_i
    .private_segment_fixed_size: 0
    .sgpr_count:     87
    .sgpr_spill_count: 0
    .symbol:         _Z22fa2_decode_mfma_head64IfLb1ELi16ELi16EEvPKfPKvS3_S1_PK14__hip_bfloat16PfiiiiiiiiPKiS9_xPKxS9_S9_i.kd
    .uniform_work_group_size: 1
    .uses_dynamic_stack: false
    .vgpr_count:     96
    .vgpr_spill_count: 0
    .wavefront_size: 64
  - .agpr_count:     0
    .args:
      - .actual_access:  read_only
        .address_space:  global
        .offset:         0
        .size:           8
        .value_kind:     global_buffer
      - .actual_access:  read_only
        .address_space:  global
        .offset:         8
        .size:           8
        .value_kind:     global_buffer
      - .actual_access:  read_only
        .address_space:  global
        .offset:         16
        .size:           8
        .value_kind:     global_buffer
      - .actual_access:  read_only
        .address_space:  global
        .offset:         24
        .size:           8
        .value_kind:     global_buffer
      - .actual_access:  read_only
        .address_space:  global
        .offset:         32
        .size:           8
        .value_kind:     global_buffer
      - .actual_access:  write_only
        .address_space:  global
        .offset:         40
        .size:           8
        .value_kind:     global_buffer
      - .offset:         48
        .size:           4
        .value_kind:     by_value
      - .offset:         52
        .size:           4
        .value_kind:     by_value
      - .offset:         56
        .size:           4
        .value_kind:     by_value
      - .offset:         60
        .size:           4
        .value_kind:     by_value
      - .offset:         64
        .size:           4
        .value_kind:     by_value
      - .offset:         68
        .size:           4
        .value_kind:     by_value
      - .offset:         72
        .size:           4
        .value_kind:     by_value
      - .offset:         76
        .size:           4
        .value_kind:     by_value
      - .actual_access:  read_only
        .address_space:  global
        .offset:         80
        .size:           8
        .value_kind:     global_buffer
      - .actual_access:  read_only
        .address_space:  global
        .offset:         88
        .size:           8
        .value_kind:     global_buffer
      - .offset:         96
        .size:           8
        .value_kind:     by_value
      - .actual_access:  read_only
        .address_space:  global
        .offset:         104
        .size:           8
        .value_kind:     global_buffer
      - .actual_access:  read_only
        .address_space:  global
        .offset:         112
        .size:           8
        .value_kind:     global_buffer
      - .actual_access:  read_only
        .address_space:  global
        .offset:         120
        .size:           8
        .value_kind:     global_buffer
      - .offset:         128
        .size:           4
        .value_kind:     by_value
    .group_segment_fixed_size: 4992
    .kernarg_segment_align: 8
    .kernarg_segment_size: 132
    .language:       OpenCL C
    .language_version:
      - 2
      - 0
    .max_flat_workgroup_size: 1024
    .name:           _Z22fa2_decode_mfma_head64IfLb0ELi16ELi16EEvPKfPKvS3_S1_PK14__hip_bfloat16PfiiiiiiiiPKiS9_xPKxS9_S9_i
    .private_segment_fixed_size: 0
    .sgpr_count:     86
    .sgpr_spill_count: 0
    .symbol:         _Z22fa2_decode_mfma_head64IfLb0ELi16ELi16EEvPKfPKvS3_S1_PK14__hip_bfloat16PfiiiiiiiiPKiS9_xPKxS9_S9_i.kd
    .uniform_work_group_size: 1
    .uses_dynamic_stack: false
    .vgpr_count:     94
    .vgpr_spill_count: 0
    .wavefront_size: 64
  - .agpr_count:     0
    .args:
      - .actual_access:  read_only
        .address_space:  global
        .offset:         0
        .size:           8
        .value_kind:     global_buffer
      - .actual_access:  read_only
        .address_space:  global
        .offset:         8
        .size:           8
        .value_kind:     global_buffer
      - .actual_access:  write_only
        .address_space:  global
        .offset:         16
        .size:           8
        .value_kind:     global_buffer
      - .offset:         24
        .size:           4
        .value_kind:     by_value
      - .offset:         28
        .size:           4
        .value_kind:     by_value
      - .offset:         32
        .size:           4
        .value_kind:     hidden_block_count_x
      - .offset:         36
        .size:           4
        .value_kind:     hidden_block_count_y
      - .offset:         40
        .size:           4
        .value_kind:     hidden_block_count_z
      - .offset:         44
        .size:           2
        .value_kind:     hidden_group_size_x
      - .offset:         46
        .size:           2
        .value_kind:     hidden_group_size_y
      - .offset:         48
        .size:           2
        .value_kind:     hidden_group_size_z
      - .offset:         50
        .size:           2
        .value_kind:     hidden_remainder_x
      - .offset:         52
        .size:           2
        .value_kind:     hidden_remainder_y
      - .offset:         54
        .size:           2
        .value_kind:     hidden_remainder_z
      - .offset:         72
        .size:           8
        .value_kind:     hidden_global_offset_x
      - .offset:         80
        .size:           8
        .value_kind:     hidden_global_offset_y
      - .offset:         88
        .size:           8
        .value_kind:     hidden_global_offset_z
      - .offset:         96
        .size:           2
        .value_kind:     hidden_grid_dims
    .group_segment_fixed_size: 0
    .kernarg_segment_align: 8
    .kernarg_segment_size: 288
    .language:       OpenCL C
    .language_version:
      - 2
      - 0
    .max_flat_workgroup_size: 256
    .name:           _Z16embed_kernel_vecILi8EEvPK14__hip_bfloat16PKiPfii
    .private_segment_fixed_size: 0
    .sgpr_count:     56
    .sgpr_spill_count: 0
    .symbol:         _Z16embed_kernel_vecILi8EEvPK14__hip_bfloat16PKiPfii.kd
    .uniform_work_group_size: 1
    .uses_dynamic_stack: false
    .vgpr_count:     42
    .vgpr_spill_count: 0
    .wavefront_size: 64
  - .agpr_count:     0
    .args:
      - .actual_access:  read_only
        .address_space:  global
        .offset:         0
        .size:           8
        .value_kind:     global_buffer
      - .actual_access:  read_only
        .address_space:  global
        .offset:         8
        .size:           8
        .value_kind:     global_buffer
      - .actual_access:  write_only
        .address_space:  global
        .offset:         16
        .size:           8
        .value_kind:     global_buffer
      - .offset:         24
        .size:           4
        .value_kind:     by_value
      - .offset:         28
        .size:           4
        .value_kind:     by_value
      - .offset:         32
        .size:           4
        .value_kind:     hidden_block_count_x
      - .offset:         36
        .size:           4
        .value_kind:     hidden_block_count_y
      - .offset:         40
        .size:           4
        .value_kind:     hidden_block_count_z
      - .offset:         44
        .size:           2
        .value_kind:     hidden_group_size_x
      - .offset:         46
        .size:           2
        .value_kind:     hidden_group_size_y
      - .offset:         48
        .size:           2
        .value_kind:     hidden_group_size_z
      - .offset:         50
        .size:           2
        .value_kind:     hidden_remainder_x
      - .offset:         52
        .size:           2
        .value_kind:     hidden_remainder_y
      - .offset:         54
        .size:           2
        .value_kind:     hidden_remainder_z
      - .offset:         72
        .size:           8
        .value_kind:     hidden_global_offset_x
      - .offset:         80
        .size:           8
        .value_kind:     hidden_global_offset_y
      - .offset:         88
        .size:           8
        .value_kind:     hidden_global_offset_z
      - .offset:         96
        .size:           2
        .value_kind:     hidden_grid_dims
    .group_segment_fixed_size: 0
    .kernarg_segment_align: 8
    .kernarg_segment_size: 288
    .language:       OpenCL C
    .language_version:
      - 2
      - 0
    .max_flat_workgroup_size: 256
    .name:           _Z16embed_kernel_vecILi2EEvPK14__hip_bfloat16PKiPfii
    .private_segment_fixed_size: 0
    .sgpr_count:     26
    .sgpr_spill_count: 0
    .symbol:         _Z16embed_kernel_vecILi2EEvPK14__hip_bfloat16PKiPfii.kd
    .uniform_work_group_size: 1
    .uses_dynamic_stack: false
    .vgpr_count:     20
    .vgpr_spill_count: 0
    .wavefront_size: 64
  - .agpr_count:     0
    .args:
      - .actual_access:  read_only
        .address_space:  global
        .offset:         0
        .size:           8
        .value_kind:     global_buffer
      - .actual_access:  write_only
        .address_space:  global
        .offset:         8
        .size:           8
        .value_kind:     global_buffer
      - .actual_access:  write_only
        .address_space:  global
        .offset:         16
        .size:           8
        .value_kind:     global_buffer
      - .actual_access:  write_only
        .address_space:  global
        .offset:         24
        .size:           8
        .value_kind:     global_buffer
      - .offset:         32
        .size:           4
        .value_kind:     by_value
      - .offset:         36
        .size:           4
        .value_kind:     by_value
      - .offset:         40
        .size:           4
        .value_kind:     by_value
      - .offset:         44
        .size:           4
        .value_kind:     by_value
      - .offset:         48
        .size:           4
        .value_kind:     by_value
      - .actual_access:  read_only
        .address_space:  global
        .offset:         56
        .size:           8
        .value_kind:     global_buffer
      - .offset:         64
        .size:           4
        .value_kind:     by_value
      - .actual_access:  read_only
        .address_space:  global
        .offset:         72
        .size:           8
        .value_kind:     global_buffer
      - .offset:         80
        .size:           8
        .value_kind:     by_value
      - .offset:         88
        .size:           4
        .value_kind:     by_value
      - .offset:         92
        .size:           4
        .value_kind:     by_value
      - .actual_access:  read_only
        .address_space:  global
        .offset:         96
        .size:           8
        .value_kind:     global_buffer
      - .actual_access:  read_only
        .address_space:  global
        .offset:         104
        .size:           8
        .value_kind:     global_buffer
      - .actual_access:  read_only
        .address_space:  global
        .offset:         112
        .size:           8
        .value_kind:     global_buffer
      - .offset:         120
        .size:           4
        .value_kind:     hidden_block_count_x
      - .offset:         124
        .size:           4
        .value_kind:     hidden_block_count_y
      - .offset:         128
        .size:           4
        .value_kind:     hidden_block_count_z
      - .offset:         132
        .size:           2
        .value_kind:     hidden_group_size_x
      - .offset:         134
        .size:           2
        .value_kind:     hidden_group_size_y
      - .offset:         136
        .size:           2
        .value_kind:     hidden_group_size_z
      - .offset:         138
        .size:           2
        .value_kind:     hidden_remainder_x
      - .offset:         140
        .size:           2
        .value_kind:     hidden_remainder_y
      - .offset:         142
        .size:           2
        .value_kind:     hidden_remainder_z
      - .offset:         160
        .size:           8
        .value_kind:     hidden_global_offset_x
      - .offset:         168
        .size:           8
        .value_kind:     hidden_global_offset_y
      - .offset:         176
        .size:           8
        .value_kind:     hidden_global_offset_z
      - .offset:         184
        .size:           2
        .value_kind:     hidden_grid_dims
    .group_segment_fixed_size: 0
    .kernarg_segment_align: 8
    .kernarg_segment_size: 376
    .language:       OpenCL C
    .language_version:
      - 2
      - 0
    .max_flat_workgroup_size: 1024
    .name:           _Z16split_qkv_kernelILi4EEvPKfPfPvS3_iiiiiPKiiS5_xiiPKxS5_S5_
    .private_segment_fixed_size: 0
    .sgpr_count:     32
    .sgpr_spill_count: 0
    .symbol:         _Z16split_qkv_kernelILi4EEvPKfPfPvS3_iiiiiPKiiS5_xiiPKxS5_S5_.kd
    .uniform_work_group_size: 1
    .uses_dynamic_stack: false
    .vgpr_count:     12
    .vgpr_spill_count: 0
    .wavefront_size: 64
  - .agpr_count:     0
    .args:
      - .actual_access:  read_only
        .address_space:  global
        .offset:         0
        .size:           8
        .value_kind:     global_buffer
      - .actual_access:  write_only
        .address_space:  global
        .offset:         8
        .size:           8
        .value_kind:     global_buffer
      - .actual_access:  write_only
        .address_space:  global
        .offset:         16
        .size:           8
        .value_kind:     global_buffer
      - .actual_access:  write_only
        .address_space:  global
        .offset:         24
        .size:           8
        .value_kind:     global_buffer
      - .offset:         32
        .size:           4
        .value_kind:     by_value
      - .offset:         36
        .size:           4
        .value_kind:     by_value
      - .offset:         40
        .size:           4
        .value_kind:     by_value
      - .offset:         44
        .size:           4
        .value_kind:     by_value
      - .offset:         48
        .size:           4
        .value_kind:     by_value
      - .actual_access:  read_only
        .address_space:  global
        .offset:         56
        .size:           8
        .value_kind:     global_buffer
      - .offset:         64
        .size:           4
        .value_kind:     by_value
      - .actual_access:  read_only
        .address_space:  global
        .offset:         72
        .size:           8
        .value_kind:     global_buffer
      - .offset:         80
        .size:           8
        .value_kind:     by_value
      - .offset:         88
        .size:           4
        .value_kind:     by_value
      - .offset:         92
        .size:           4
        .value_kind:     by_value
      - .actual_access:  read_only
        .address_space:  global
        .offset:         96
        .size:           8
        .value_kind:     global_buffer
      - .actual_access:  read_only
        .address_space:  global
        .offset:         104
        .size:           8
        .value_kind:     global_buffer
      - .actual_access:  read_only
        .address_space:  global
        .offset:         112
        .size:           8
        .value_kind:     global_buffer
      - .offset:         120
        .size:           4
        .value_kind:     hidden_block_count_x
      - .offset:         124
        .size:           4
        .value_kind:     hidden_block_count_y
      - .offset:         128
        .size:           4
        .value_kind:     hidden_block_count_z
      - .offset:         132
        .size:           2
        .value_kind:     hidden_group_size_x
      - .offset:         134
        .size:           2
        .value_kind:     hidden_group_size_y
      - .offset:         136
        .size:           2
        .value_kind:     hidden_group_size_z
      - .offset:         138
        .size:           2
        .value_kind:     hidden_remainder_x
      - .offset:         140
        .size:           2
        .value_kind:     hidden_remainder_y
      - .offset:         142
        .size:           2
        .value_kind:     hidden_remainder_z
      - .offset:         160
        .size:           8
        .value_kind:     hidden_global_offset_x
      - .offset:         168
        .size:           8
        .value_kind:     hidden_global_offset_y
      - .offset:         176
        .size:           8
        .value_kind:     hidden_global_offset_z
      - .offset:         184
        .size:           2
        .value_kind:     hidden_grid_dims
    .group_segment_fixed_size: 0
    .kernarg_segment_align: 8
    .kernarg_segment_size: 376
    .language:       OpenCL C
    .language_version:
      - 2
      - 0
    .max_flat_workgroup_size: 1024
    .name:           _Z16split_qkv_kernelILi1EEvPKfPfPvS3_iiiiiPKiiS5_xiiPKxS5_S5_
    .private_segment_fixed_size: 0
    .sgpr_count:     32
    .sgpr_spill_count: 0
    .symbol:         _Z16split_qkv_kernelILi1EEvPKfPfPvS3_iiiiiPKiiS5_xiiPKxS5_S5_.kd
    .uniform_work_group_size: 1
    .uses_dynamic_stack: false
    .vgpr_count:     10
    .vgpr_spill_count: 0
    .wavefront_size: 64
amdhsa.target:   amdgcn-amd-amdhsa--gfx90a
amdhsa.version:
  - 1
  - 2
...

	.end_amdgpu_metadata
